;; amdgpu-corpus repo=ROCm/rocFFT kind=compiled arch=gfx906 opt=O3
	.text
	.amdgcn_target "amdgcn-amd-amdhsa--gfx906"
	.amdhsa_code_object_version 6
	.protected	bluestein_single_fwd_len900_dim1_sp_op_CI_CI ; -- Begin function bluestein_single_fwd_len900_dim1_sp_op_CI_CI
	.globl	bluestein_single_fwd_len900_dim1_sp_op_CI_CI
	.p2align	8
	.type	bluestein_single_fwd_len900_dim1_sp_op_CI_CI,@function
bluestein_single_fwd_len900_dim1_sp_op_CI_CI: ; @bluestein_single_fwd_len900_dim1_sp_op_CI_CI
; %bb.0:
	s_load_dwordx4 s[0:3], s[4:5], 0x28
	v_mul_u32_u24_e32 v1, 0x2d9, v0
	v_lshrrev_b32_e32 v1, 16, v1
	v_mov_b32_e32 v69, 0
	v_lshl_add_u32 v70, s6, 1, v1
	v_mov_b32_e32 v71, v69
	s_waitcnt lgkmcnt(0)
	v_cmp_gt_u64_e32 vcc, s[0:1], v[70:71]
	s_and_saveexec_b64 s[0:1], vcc
	s_cbranch_execz .LBB0_18
; %bb.1:
	s_load_dwordx4 s[8:11], s[4:5], 0x18
	s_load_dwordx4 s[12:15], s[4:5], 0x0
	v_mul_lo_u16_e32 v2, 0x5a, v1
	v_sub_u16_e32 v68, v0, v2
	v_lshlrev_b32_e32 v26, 3, v68
	s_waitcnt lgkmcnt(0)
	s_load_dwordx4 s[16:19], s[8:9], 0x0
	s_movk_i32 s6, 0x1000
	s_mov_b32 s7, 0x3f737871
                                        ; implicit-def: $vgpr52
	s_waitcnt lgkmcnt(0)
	v_mad_u64_u32 v[2:3], s[0:1], s18, v70, 0
	v_mad_u64_u32 v[4:5], s[0:1], s16, v68, 0
	v_mov_b32_e32 v0, v3
	v_mov_b32_e32 v3, v5
	v_mad_u64_u32 v[5:6], s[0:1], s19, v70, v[0:1]
	v_mad_u64_u32 v[6:7], s[0:1], s17, v68, v[3:4]
	v_mov_b32_e32 v3, v5
	v_lshlrev_b64 v[2:3], 3, v[2:3]
	v_mov_b32_e32 v0, s3
	v_mov_b32_e32 v5, v6
	v_add_co_u32_e32 v6, vcc, s2, v2
	v_addc_co_u32_e32 v0, vcc, v0, v3, vcc
	v_lshlrev_b64 v[2:3], 3, v[4:5]
	v_add_co_u32_e64 v104, s[2:3], s12, v26
	v_add_co_u32_e32 v2, vcc, v6, v2
	v_addc_co_u32_e32 v3, vcc, v0, v3, vcc
	v_mov_b32_e32 v0, s13
	s_mul_i32 s0, s17, 0x2d0
	s_mul_hi_u32 s1, s16, 0x2d0
	v_addc_co_u32_e64 v0, vcc, 0, v0, s[2:3]
	s_add_i32 s0, s1, s0
	s_mul_i32 s1, s16, 0x2d0
	v_mov_b32_e32 v5, s0
	v_add_co_u32_e32 v4, vcc, s1, v2
	v_addc_co_u32_e32 v5, vcc, v3, v5, vcc
	v_mov_b32_e32 v7, s0
	v_add_co_u32_e32 v6, vcc, s1, v4
	v_addc_co_u32_e32 v7, vcc, v5, v7, vcc
	v_mov_b32_e32 v9, s0
	v_add_co_u32_e32 v8, vcc, s1, v6
	v_addc_co_u32_e32 v9, vcc, v7, v9, vcc
	global_load_dwordx2 v[10:11], v[2:3], off
	global_load_dwordx2 v[12:13], v[4:5], off
	;; [unrolled: 1-line block ×4, first 2 shown]
	global_load_dwordx2 v[85:86], v26, s[12:13]
	global_load_dwordx2 v[83:84], v26, s[12:13] offset:720
	global_load_dwordx2 v[81:82], v26, s[12:13] offset:1440
	;; [unrolled: 1-line block ×3, first 2 shown]
	v_mov_b32_e32 v3, s0
	v_add_co_u32_e32 v2, vcc, s1, v8
	v_addc_co_u32_e32 v3, vcc, v9, v3, vcc
	global_load_dwordx2 v[4:5], v[2:3], off
	v_mov_b32_e32 v6, s0
	v_add_co_u32_e32 v2, vcc, s1, v2
	v_addc_co_u32_e32 v3, vcc, v3, v6, vcc
	global_load_dwordx2 v[6:7], v[2:3], off
	global_load_dwordx2 v[79:80], v26, s[12:13] offset:2880
	global_load_dwordx2 v[73:74], v26, s[12:13] offset:3600
	v_mov_b32_e32 v8, s0
	v_add_co_u32_e32 v2, vcc, s1, v2
	v_addc_co_u32_e32 v3, vcc, v3, v8, vcc
	v_add_co_u32_e32 v18, vcc, s6, v104
	v_addc_co_u32_e32 v19, vcc, 0, v0, vcc
	global_load_dwordx2 v[8:9], v[2:3], off
	v_mov_b32_e32 v0, s0
	v_add_co_u32_e32 v2, vcc, s1, v2
	v_addc_co_u32_e32 v3, vcc, v3, v0, vcc
	global_load_dwordx2 v[20:21], v[2:3], off
	global_load_dwordx2 v[75:76], v[18:19], off offset:224
	global_load_dwordx2 v[71:72], v[18:19], off offset:944
	v_add_co_u32_e32 v2, vcc, s1, v2
	v_addc_co_u32_e32 v3, vcc, v3, v0, vcc
	global_load_dwordx2 v[22:23], v[2:3], off
	global_load_dwordx2 v[66:67], v[18:19], off offset:1664
	v_add_co_u32_e32 v2, vcc, s1, v2
	v_addc_co_u32_e32 v3, vcc, v3, v0, vcc
	global_load_dwordx2 v[24:25], v[2:3], off
	global_load_dwordx2 v[64:65], v[18:19], off offset:2384
	v_and_b32_e32 v0, 1, v1
	v_mov_b32_e32 v1, 0x384
	v_cmp_eq_u32_e32 vcc, 1, v0
	v_cndmask_b32_e32 v1, 0, v1, vcc
	v_lshlrev_b32_e32 v109, 3, v1
	v_add_u32_e32 v103, v109, v26
	v_add_u32_e32 v18, 0x1000, v103
	v_add_u32_e32 v35, 0x1400, v103
	s_load_dwordx4 s[8:11], s[10:11], 0x0
	s_mov_b32 s1, 0x3f167918
	s_mov_b32 s0, 0xbf167918
	;; [unrolled: 1-line block ×3, first 2 shown]
	s_movk_i32 s12, 0xcd
	s_waitcnt vmcnt(15)
	v_mul_f32_e32 v0, v11, v86
	v_mul_f32_e32 v1, v10, v86
	s_waitcnt vmcnt(14)
	v_mul_f32_e32 v2, v13, v84
	v_mul_f32_e32 v3, v12, v84
	v_fmac_f32_e32 v0, v10, v85
	v_fma_f32 v1, v11, v85, -v1
	v_fmac_f32_e32 v2, v12, v83
	v_fma_f32 v3, v13, v83, -v3
	ds_write2_b64 v103, v[0:1], v[2:3] offset1:90
	s_waitcnt vmcnt(13)
	v_mul_f32_e32 v0, v15, v82
	v_mul_f32_e32 v1, v14, v82
	s_waitcnt vmcnt(12)
	v_mul_f32_e32 v2, v17, v78
	v_mul_f32_e32 v3, v16, v78
	v_fmac_f32_e32 v0, v14, v81
	v_fma_f32 v1, v15, v81, -v1
	v_fmac_f32_e32 v2, v16, v77
	v_fma_f32 v3, v17, v77, -v3
	v_add_u32_e32 v16, 0x400, v103
	ds_write2_b64 v16, v[0:1], v[2:3] offset0:52 offset1:142
	s_waitcnt vmcnt(9)
	v_mul_f32_e32 v0, v5, v80
	v_mul_f32_e32 v1, v4, v80
	s_waitcnt vmcnt(8)
	v_mul_f32_e32 v2, v7, v74
	v_mul_f32_e32 v3, v6, v74
	v_fmac_f32_e32 v0, v4, v79
	v_fma_f32 v1, v5, v79, -v1
	v_fmac_f32_e32 v2, v6, v73
	v_fma_f32 v3, v7, v73, -v3
	v_add_u32_e32 v17, 0x800, v103
	ds_write2_b64 v17, v[0:1], v[2:3] offset0:104 offset1:194
	s_waitcnt vmcnt(5)
	v_mul_f32_e32 v0, v9, v76
	v_mul_f32_e32 v1, v8, v76
	s_waitcnt vmcnt(4)
	v_mul_f32_e32 v2, v21, v72
	v_mul_f32_e32 v3, v20, v72
	v_fmac_f32_e32 v0, v8, v75
	v_fma_f32 v1, v9, v75, -v1
	v_fmac_f32_e32 v2, v20, v71
	v_fma_f32 v3, v21, v71, -v3
	ds_write2_b64 v18, v[0:1], v[2:3] offset0:28 offset1:118
	s_waitcnt vmcnt(2)
	v_mul_f32_e32 v0, v23, v67
	v_mul_f32_e32 v1, v22, v67
	s_waitcnt vmcnt(0)
	v_mul_f32_e32 v2, v25, v65
	v_mul_f32_e32 v3, v24, v65
	v_fmac_f32_e32 v0, v22, v66
	v_fma_f32 v1, v23, v66, -v1
	v_fmac_f32_e32 v2, v24, v64
	v_fma_f32 v3, v25, v64, -v3
	ds_write2_b64 v35, v[0:1], v[2:3] offset0:80 offset1:170
	s_waitcnt lgkmcnt(0)
	s_barrier
	ds_read2_b64 v[0:3], v103 offset1:90
	ds_read2_b64 v[4:7], v16 offset0:52 offset1:142
	ds_read2_b64 v[8:11], v17 offset0:104 offset1:194
	;; [unrolled: 1-line block ×4, first 2 shown]
	s_waitcnt lgkmcnt(0)
	v_add_f32_e32 v23, v0, v4
	v_sub_f32_e32 v28, v4, v8
	v_add_f32_e32 v24, v8, v12
	v_fma_f32 v24, -0.5, v24, v0
	v_sub_f32_e32 v25, v5, v20
	v_mov_b32_e32 v26, v24
	v_fmac_f32_e32 v26, 0x3f737871, v25
	v_sub_f32_e32 v27, v9, v13
	v_sub_f32_e32 v29, v19, v12
	v_fmac_f32_e32 v24, 0xbf737871, v25
	v_fmac_f32_e32 v26, 0x3f167918, v27
	v_add_f32_e32 v28, v28, v29
	v_fmac_f32_e32 v24, 0xbf167918, v27
	v_fmac_f32_e32 v26, 0x3e9e377a, v28
	;; [unrolled: 1-line block ×3, first 2 shown]
	v_add_f32_e32 v28, v4, v19
	v_fma_f32 v28, -0.5, v28, v0
	v_mov_b32_e32 v29, v28
	v_fmac_f32_e32 v29, 0xbf737871, v27
	v_sub_f32_e32 v0, v8, v4
	v_sub_f32_e32 v30, v12, v19
	v_fmac_f32_e32 v28, 0x3f737871, v27
	v_fmac_f32_e32 v29, 0x3f167918, v25
	v_add_f32_e32 v0, v0, v30
	v_fmac_f32_e32 v28, 0xbf167918, v25
	v_fmac_f32_e32 v29, 0x3e9e377a, v0
	;; [unrolled: 1-line block ×3, first 2 shown]
	v_add_f32_e32 v0, v1, v5
	v_add_f32_e32 v0, v0, v9
	;; [unrolled: 1-line block ×5, first 2 shown]
	v_fma_f32 v27, -0.5, v0, v1
	v_add_f32_e32 v23, v23, v8
	v_sub_f32_e32 v0, v4, v19
	v_mov_b32_e32 v30, v27
	v_add_f32_e32 v23, v23, v12
	v_fmac_f32_e32 v30, 0xbf737871, v0
	v_sub_f32_e32 v4, v8, v12
	v_sub_f32_e32 v8, v5, v9
	;; [unrolled: 1-line block ×3, first 2 shown]
	v_fmac_f32_e32 v27, 0x3f737871, v0
	v_fmac_f32_e32 v30, 0xbf167918, v4
	v_add_f32_e32 v8, v8, v12
	v_fmac_f32_e32 v27, 0x3f167918, v4
	v_fmac_f32_e32 v30, 0x3e9e377a, v8
	;; [unrolled: 1-line block ×3, first 2 shown]
	v_add_f32_e32 v8, v5, v20
	v_fma_f32 v31, -0.5, v8, v1
	v_mov_b32_e32 v32, v31
	v_fmac_f32_e32 v32, 0x3f737871, v4
	v_fmac_f32_e32 v31, 0xbf737871, v4
	;; [unrolled: 1-line block ×4, first 2 shown]
	v_add_f32_e32 v0, v2, v6
	v_add_f32_e32 v0, v0, v10
	;; [unrolled: 1-line block ×3, first 2 shown]
	v_sub_f32_e32 v1, v9, v5
	v_sub_f32_e32 v5, v13, v20
	v_add_f32_e32 v12, v0, v21
	v_add_f32_e32 v0, v10, v14
	;; [unrolled: 1-line block ×3, first 2 shown]
	v_fma_f32 v9, -0.5, v0, v2
	v_fmac_f32_e32 v32, 0x3e9e377a, v1
	v_fmac_f32_e32 v31, 0x3e9e377a, v1
	v_sub_f32_e32 v0, v7, v22
	v_mov_b32_e32 v1, v9
	v_fmac_f32_e32 v1, 0x3f737871, v0
	v_sub_f32_e32 v4, v11, v15
	v_sub_f32_e32 v5, v6, v10
	;; [unrolled: 1-line block ×3, first 2 shown]
	v_fmac_f32_e32 v9, 0xbf737871, v0
	v_fmac_f32_e32 v1, 0x3f167918, v4
	v_add_f32_e32 v5, v5, v8
	v_fmac_f32_e32 v9, 0xbf167918, v4
	v_fmac_f32_e32 v1, 0x3e9e377a, v5
	;; [unrolled: 1-line block ×3, first 2 shown]
	v_add_f32_e32 v5, v6, v21
	v_fma_f32 v13, -0.5, v5, v2
	v_add_f32_e32 v23, v23, v19
	v_mov_b32_e32 v19, v13
	v_fmac_f32_e32 v19, 0xbf737871, v4
	v_fmac_f32_e32 v13, 0x3f737871, v4
	;; [unrolled: 1-line block ×4, first 2 shown]
	v_add_f32_e32 v0, v3, v7
	v_add_f32_e32 v0, v0, v11
	;; [unrolled: 1-line block ×5, first 2 shown]
	v_sub_f32_e32 v2, v10, v6
	v_sub_f32_e32 v5, v14, v21
	v_fma_f32 v33, -0.5, v0, v3
	v_add_f32_e32 v2, v2, v5
	v_sub_f32_e32 v0, v6, v21
	v_mov_b32_e32 v21, v33
	v_fmac_f32_e32 v19, 0x3e9e377a, v2
	v_fmac_f32_e32 v13, 0x3e9e377a, v2
	;; [unrolled: 1-line block ×3, first 2 shown]
	v_sub_f32_e32 v2, v10, v14
	v_sub_f32_e32 v4, v7, v11
	;; [unrolled: 1-line block ×3, first 2 shown]
	v_fmac_f32_e32 v33, 0x3f737871, v0
	v_fmac_f32_e32 v21, 0xbf167918, v2
	v_add_f32_e32 v4, v4, v5
	v_fmac_f32_e32 v33, 0x3f167918, v2
	v_fmac_f32_e32 v21, 0x3e9e377a, v4
	v_fmac_f32_e32 v33, 0x3e9e377a, v4
	v_add_f32_e32 v4, v7, v22
	v_fmac_f32_e32 v3, -0.5, v4
	v_mov_b32_e32 v10, v3
	v_fmac_f32_e32 v10, 0x3f737871, v2
	v_sub_f32_e32 v4, v11, v7
	v_sub_f32_e32 v5, v15, v22
	v_fmac_f32_e32 v10, 0xbf167918, v0
	v_add_f32_e32 v4, v4, v5
	v_fmac_f32_e32 v3, 0xbf737871, v2
	v_fmac_f32_e32 v10, 0x3e9e377a, v4
	;; [unrolled: 1-line block ×3, first 2 shown]
	v_mul_f32_e32 v36, 0xbf737871, v19
	v_fmac_f32_e32 v3, 0x3e9e377a, v4
	v_mul_f32_e32 v11, 0x3f4f1bbd, v1
	v_mul_f32_e32 v14, 0x3f737871, v10
	;; [unrolled: 1-line block ×5, first 2 shown]
	v_fmac_f32_e32 v36, 0x3e9e377a, v10
	v_mul_f32_e32 v10, 0x3f4f1bbd, v33
	v_add_f32_e32 v4, v23, v12
	v_fmac_f32_e32 v11, 0x3f167918, v21
	v_fmac_f32_e32 v14, 0x3e9e377a, v19
	v_fma_f32 v15, v3, s7, -v2
	v_fma_f32 v22, v33, s1, -v5
	v_fmac_f32_e32 v34, 0x3f4f1bbd, v21
	v_mul_f32_e32 v3, 0x3e9e377a, v3
	v_fma_f32 v33, v9, s0, -v10
	v_sub_f32_e32 v10, v23, v12
	v_mul_lo_u16_e32 v23, 10, v68
	v_add_f32_e32 v6, v26, v11
	v_add_f32_e32 v0, v29, v14
	v_add_f32_e32 v5, v25, v20
	v_add_f32_e32 v7, v30, v34
	v_fma_f32 v37, v13, s6, -v3
	v_lshl_add_u32 v105, v23, 3, v109
	v_add_f32_e32 v2, v28, v15
	v_add_f32_e32 v8, v24, v22
	v_add_f32_e32 v1, v32, v36
	v_add_f32_e32 v3, v31, v37
	v_add_f32_e32 v9, v27, v33
	v_sub_f32_e32 v12, v26, v11
	v_sub_f32_e32 v14, v29, v14
	;; [unrolled: 1-line block ×9, first 2 shown]
	s_barrier
	ds_write_b128 v105, v[4:7]
	ds_write_b128 v105, v[0:3] offset:16
	ds_write_b128 v105, v[8:11] offset:32
	;; [unrolled: 1-line block ×4, first 2 shown]
	v_mul_lo_u16_sdwa v0, v68, s12 dst_sel:DWORD dst_unused:UNUSED_PAD src0_sel:BYTE_0 src1_sel:DWORD
	v_lshrrev_b16_e32 v39, 11, v0
	v_mul_lo_u16_e32 v0, 10, v39
	v_sub_u16_e32 v0, v68, v0
	v_and_b32_e32 v40, 0xff, v0
	v_mov_b32_e32 v0, s14
	s_movk_i32 s12, 0x48
	v_mov_b32_e32 v1, s15
	v_mad_u64_u32 v[19:20], s[16:17], v40, s12, v[0:1]
	s_waitcnt lgkmcnt(0)
	s_barrier
	global_load_dwordx4 v[12:15], v[19:20], off
	global_load_dwordx4 v[8:11], v[19:20], off offset:16
	global_load_dwordx4 v[4:7], v[19:20], off offset:32
	;; [unrolled: 1-line block ×3, first 2 shown]
	global_load_dwordx2 v[87:88], v[19:20], off offset:64
	ds_read2_b64 v[19:22], v103 offset1:90
	ds_read2_b64 v[23:26], v16 offset0:52 offset1:142
	ds_read2_b64 v[27:30], v17 offset0:104 offset1:194
	ds_read2_b64 v[31:34], v18 offset0:28 offset1:118
	ds_read2_b64 v[35:38], v35 offset0:80 offset1:170
	s_waitcnt vmcnt(0) lgkmcnt(0)
	s_barrier
	s_load_dwordx2 s[16:17], s[4:5], 0x38
	v_mul_f32_e32 v41, v22, v13
	v_fma_f32 v41, v21, v12, -v41
	v_mul_f32_e32 v42, v21, v13
	v_mul_f32_e32 v21, v24, v15
	v_fmac_f32_e32 v42, v22, v12
	v_fma_f32 v21, v23, v14, -v21
	v_mul_f32_e32 v22, v23, v15
	v_mul_f32_e32 v23, v26, v9
	v_fmac_f32_e32 v22, v24, v14
	;; [unrolled: 4-line block ×8, first 2 shown]
	v_fma_f32 v35, v37, v87, -v35
	v_mul_f32_e32 v36, v37, v88
	v_add_f32_e32 v37, v25, v29
	v_fma_f32 v37, -0.5, v37, v19
	v_fmac_f32_e32 v36, v38, v87
	v_sub_f32_e32 v38, v22, v34
	v_mov_b32_e32 v43, v37
	v_fmac_f32_e32 v43, 0x3f737871, v38
	v_sub_f32_e32 v44, v26, v30
	v_sub_f32_e32 v45, v21, v25
	;; [unrolled: 1-line block ×3, first 2 shown]
	v_fmac_f32_e32 v37, 0xbf737871, v38
	v_fmac_f32_e32 v43, 0x3f167918, v44
	v_add_f32_e32 v45, v45, v46
	v_fmac_f32_e32 v37, 0xbf167918, v44
	v_fmac_f32_e32 v43, 0x3e9e377a, v45
	;; [unrolled: 1-line block ×3, first 2 shown]
	v_add_f32_e32 v45, v21, v33
	v_fma_f32 v45, -0.5, v45, v19
	v_add_f32_e32 v19, v19, v21
	v_sub_f32_e32 v46, v25, v21
	v_sub_f32_e32 v47, v29, v33
	v_add_f32_e32 v19, v19, v25
	v_add_f32_e32 v46, v46, v47
	v_mov_b32_e32 v47, v45
	v_add_f32_e32 v19, v19, v29
	v_fmac_f32_e32 v47, 0xbf737871, v44
	v_fmac_f32_e32 v45, 0x3f737871, v44
	v_add_f32_e32 v44, v19, v33
	v_add_f32_e32 v19, v20, v22
	;; [unrolled: 1-line block ×4, first 2 shown]
	v_fmac_f32_e32 v47, 0x3f167918, v38
	v_fmac_f32_e32 v45, 0xbf167918, v38
	v_add_f32_e32 v38, v19, v34
	v_add_f32_e32 v19, v26, v30
	v_fmac_f32_e32 v47, 0x3e9e377a, v46
	v_fmac_f32_e32 v45, 0x3e9e377a, v46
	v_fma_f32 v46, -0.5, v19, v20
	v_sub_f32_e32 v19, v21, v33
	v_mov_b32_e32 v48, v46
	v_sub_f32_e32 v21, v25, v29
	v_sub_f32_e32 v25, v22, v26
	;; [unrolled: 1-line block ×3, first 2 shown]
	v_fmac_f32_e32 v48, 0xbf737871, v19
	v_fmac_f32_e32 v46, 0x3f737871, v19
	v_add_f32_e32 v25, v25, v29
	v_fmac_f32_e32 v48, 0xbf167918, v21
	v_fmac_f32_e32 v46, 0x3f167918, v21
	;; [unrolled: 1-line block ×4, first 2 shown]
	v_add_f32_e32 v25, v22, v34
	v_fma_f32 v49, -0.5, v25, v20
	v_mov_b32_e32 v50, v49
	v_fmac_f32_e32 v50, 0x3f737871, v21
	v_fmac_f32_e32 v49, 0xbf737871, v21
	;; [unrolled: 1-line block ×4, first 2 shown]
	v_add_f32_e32 v19, v41, v23
	v_add_f32_e32 v19, v19, v27
	v_sub_f32_e32 v20, v26, v22
	v_sub_f32_e32 v22, v30, v34
	v_add_f32_e32 v19, v19, v31
	v_add_f32_e32 v20, v20, v22
	;; [unrolled: 1-line block ×4, first 2 shown]
	v_fma_f32 v30, -0.5, v19, v41
	v_fmac_f32_e32 v50, 0x3e9e377a, v20
	v_fmac_f32_e32 v49, 0x3e9e377a, v20
	v_sub_f32_e32 v19, v24, v36
	v_mov_b32_e32 v20, v30
	v_fmac_f32_e32 v20, 0x3f737871, v19
	v_sub_f32_e32 v21, v28, v32
	v_sub_f32_e32 v25, v23, v27
	;; [unrolled: 1-line block ×3, first 2 shown]
	v_fmac_f32_e32 v30, 0xbf737871, v19
	v_fmac_f32_e32 v20, 0x3f167918, v21
	v_add_f32_e32 v25, v25, v26
	v_fmac_f32_e32 v30, 0xbf167918, v21
	v_fmac_f32_e32 v20, 0x3e9e377a, v25
	;; [unrolled: 1-line block ×3, first 2 shown]
	v_add_f32_e32 v25, v23, v35
	v_fmac_f32_e32 v41, -0.5, v25
	v_mov_b32_e32 v25, v41
	v_fmac_f32_e32 v25, 0xbf737871, v21
	v_fmac_f32_e32 v41, 0x3f737871, v21
	;; [unrolled: 1-line block ×4, first 2 shown]
	v_add_f32_e32 v19, v42, v24
	v_sub_f32_e32 v26, v27, v23
	v_sub_f32_e32 v29, v31, v35
	v_add_f32_e32 v19, v19, v28
	v_add_f32_e32 v26, v26, v29
	;; [unrolled: 1-line block ×3, first 2 shown]
	v_fmac_f32_e32 v25, 0x3e9e377a, v26
	v_fmac_f32_e32 v41, 0x3e9e377a, v26
	v_add_f32_e32 v26, v19, v36
	v_add_f32_e32 v19, v28, v32
	v_fma_f32 v33, -0.5, v19, v42
	v_sub_f32_e32 v19, v23, v35
	v_mov_b32_e32 v29, v33
	v_fmac_f32_e32 v29, 0xbf737871, v19
	v_sub_f32_e32 v21, v27, v31
	v_sub_f32_e32 v23, v24, v28
	;; [unrolled: 1-line block ×3, first 2 shown]
	v_fmac_f32_e32 v33, 0x3f737871, v19
	v_fmac_f32_e32 v29, 0xbf167918, v21
	v_add_f32_e32 v23, v23, v27
	v_fmac_f32_e32 v33, 0x3f167918, v21
	v_fmac_f32_e32 v29, 0x3e9e377a, v23
	;; [unrolled: 1-line block ×3, first 2 shown]
	v_add_f32_e32 v23, v24, v36
	v_fmac_f32_e32 v42, -0.5, v23
	v_mov_b32_e32 v27, v42
	v_sub_f32_e32 v23, v28, v24
	v_sub_f32_e32 v24, v32, v36
	v_fmac_f32_e32 v42, 0xbf737871, v21
	v_add_f32_e32 v23, v23, v24
	v_fmac_f32_e32 v42, 0x3f167918, v19
	v_fmac_f32_e32 v42, 0x3e9e377a, v23
	v_mul_f32_e32 v31, 0x3f167918, v29
	v_fmac_f32_e32 v27, 0x3f737871, v21
	v_fmac_f32_e32 v31, 0x3f4f1bbd, v20
	v_mul_f32_e32 v36, 0xbf167918, v20
	v_mul_f32_e32 v20, 0x3e9e377a, v42
	v_fmac_f32_e32 v27, 0xbf167918, v19
	v_mul_f32_e32 v24, 0x3e9e377a, v41
	v_fma_f32 v41, v41, s6, -v20
	v_mul_f32_e32 v20, 0x3f4f1bbd, v30
	v_fmac_f32_e32 v27, 0x3e9e377a, v23
	v_fma_f32 v34, v42, s7, -v24
	v_fma_f32 v42, v33, s1, -v20
	v_mul_f32_e32 v32, 0x3f737871, v27
	v_fmac_f32_e32 v36, 0x3f4f1bbd, v29
	v_mul_f32_e32 v51, 0xbf737871, v25
	v_add_f32_e32 v29, v37, v42
	v_sub_f32_e32 v89, v37, v42
	v_mul_u32_u24_e32 v37, 0x64, v39
	v_fmac_f32_e32 v32, 0x3e9e377a, v25
	v_fmac_f32_e32 v51, 0x3e9e377a, v27
	v_mul_f32_e32 v33, 0x3f4f1bbd, v33
	v_add_u32_e32 v37, v37, v40
	v_add_f32_e32 v19, v44, v22
	v_add_f32_e32 v21, v43, v31
	;; [unrolled: 1-line block ×5, first 2 shown]
	v_sub_f32_e32 v27, v44, v22
	v_sub_f32_e32 v28, v38, v26
	v_add_f32_e32 v22, v48, v36
	v_fma_f32 v38, v30, s0, -v33
	v_sub_f32_e32 v33, v47, v32
	v_sub_f32_e32 v35, v45, v34
	;; [unrolled: 1-line block ×5, first 2 shown]
	v_lshl_add_u32 v106, v37, 3, v109
	v_add_f32_e32 v24, v50, v51
	v_add_f32_e32 v26, v49, v41
	v_add_f32_e32 v30, v46, v38
	v_sub_f32_e32 v31, v43, v31
	v_sub_f32_e32 v90, v46, v38
	ds_write2_b64 v106, v[19:20], v[21:22] offset1:10
	ds_write2_b64 v106, v[23:24], v[25:26] offset0:20 offset1:30
	ds_write2_b64 v106, v[29:30], v[27:28] offset0:40 offset1:50
	;; [unrolled: 1-line block ×4, first 2 shown]
	s_waitcnt lgkmcnt(0)
	s_barrier
	ds_read2_b64 v[36:39], v103 offset1:90
	ds_read2_b64 v[32:35], v16 offset0:52 offset1:172
	ds_read2_b64 v[44:47], v18 offset0:88 offset1:178
	ds_read2_b64 v[40:43], v17 offset0:134 offset1:224
	ds_read_b64 v[48:49], v103 offset:6240
	v_cmp_gt_u16_e64 s[0:1], 30, v68
                                        ; implicit-def: $vgpr50
	s_and_saveexec_b64 s[4:5], s[0:1]
	s_cbranch_execz .LBB0_3
; %bb.2:
	ds_read_b64 v[89:90], v103 offset:2160
	ds_read_b64 v[50:51], v103 offset:4560
	ds_read_b64 v[52:53], v103 offset:6960
.LBB0_3:
	s_or_b64 exec, exec, s[4:5]
	v_lshlrev_b64 v[16:17], 4, v[68:69]
	v_mov_b32_e32 v29, s15
	v_add_co_u32_e64 v97, s[6:7], s14, v16
	v_addc_co_u32_e64 v98, s[6:7], v29, v17, s[6:7]
	v_add_co_u32_e32 v93, vcc, 0x5a, v68
	v_add_co_u32_e64 v20, s[6:7], -10, v68
	v_addc_co_u32_e64 v94, s[4:5], 0, 0, vcc
	v_add_co_u32_e32 v91, vcc, 0xb4, v68
	v_addc_co_u32_e64 v21, s[6:7], 0, -1, s[6:7]
	v_cmp_gt_u16_e64 s[6:7], 10, v68
	v_lshrrev_b16_e32 v24, 2, v91
	s_mov_b64 s[4:5], vcc
	v_add_co_u32_e32 v110, vcc, 0x10e, v68
	v_cndmask_b32_e64 v55, v21, v94, s[6:7]
	v_cndmask_b32_e64 v54, v20, v93, s[6:7]
	v_mul_u32_u24_e32 v24, 0x147b, v24
	v_lshlrev_b64 v[20:21], 4, v[54:55]
	v_lshrrev_b32_e32 v55, 17, v24
	v_lshrrev_b16_e32 v28, 2, v110
	v_mul_lo_u16_e32 v24, 0x64, v55
	v_mul_u32_u24_e32 v28, 0x147b, v28
	v_add_co_u32_e64 v20, s[6:7], s14, v20
	v_sub_u16_e32 v56, v91, v24
	v_lshrrev_b32_e32 v28, 17, v28
	global_load_dwordx4 v[16:19], v[97:98], off offset:720
	v_addc_co_u32_e64 v21, s[6:7], v29, v21, s[6:7]
	v_lshlrev_b16_e32 v24, 4, v56
	v_mul_lo_u16_e32 v28, 0x64, v28
	v_add_co_u32_e64 v24, s[6:7], s14, v24
	v_sub_u16_e32 v57, v110, v28
	v_addc_co_u32_e64 v25, s[6:7], 0, v29, s[6:7]
	v_lshlrev_b16_e32 v28, 4, v57
	global_load_dwordx4 v[20:23], v[20:21], off offset:720
	v_add_co_u32_e64 v28, s[6:7], s14, v28
	global_load_dwordx4 v[24:27], v[24:25], off offset:720
	v_addc_co_u32_e64 v29, s[6:7], 0, v29, s[6:7]
	global_load_dwordx4 v[28:31], v[28:29], off offset:720
	v_addc_co_u32_e64 v92, s[4:5], 0, 0, s[4:5]
	v_addc_co_u32_e64 v111, s[4:5], 0, 0, vcc
	s_waitcnt vmcnt(0) lgkmcnt(0)
	s_barrier
	v_cmp_lt_u16_e32 vcc, 9, v68
	s_movk_i32 s4, 0x12c
	v_mul_f32_e32 v58, v35, v17
	v_mul_f32_e32 v60, v45, v19
	;; [unrolled: 1-line block ×4, first 2 shown]
	v_fma_f32 v58, v34, v16, -v58
	v_fma_f32 v44, v44, v18, -v60
	v_fmac_f32_e32 v59, v35, v16
	v_add_f32_e32 v35, v58, v44
	v_add_f32_e32 v34, v36, v58
	v_fma_f32 v36, -0.5, v35, v36
	v_fmac_f32_e32 v61, v45, v18
	v_mul_f32_e32 v35, v41, v21
	v_mul_f32_e32 v45, v40, v21
	v_fma_f32 v63, v40, v20, -v35
	v_mul_f32_e32 v35, v43, v25
	v_mul_f32_e32 v40, v49, v27
	v_fma_f32 v95, v42, v24, -v35
	v_fma_f32 v96, v48, v26, -v40
	v_mul_f32_e32 v35, v51, v29
	v_mul_f32_e32 v100, v50, v29
	;; [unrolled: 1-line block ×4, first 2 shown]
	v_fmac_f32_e32 v45, v41, v20
	v_fma_f32 v50, v50, v28, -v35
	v_fmac_f32_e32 v100, v51, v28
	v_fma_f32 v51, v52, v30, -v40
	v_sub_f32_e32 v35, v59, v61
	v_mov_b32_e32 v40, v36
	v_add_f32_e32 v41, v59, v61
	v_mul_f32_e32 v62, v46, v23
	v_fma_f32 v46, v46, v22, -v60
	v_mul_f32_e32 v60, v42, v25
	v_fmac_f32_e32 v40, 0x3f5db3d7, v35
	v_fmac_f32_e32 v36, 0xbf5db3d7, v35
	v_add_f32_e32 v35, v37, v59
	v_fma_f32 v37, -0.5, v41, v37
	v_fmac_f32_e32 v60, v43, v24
	v_sub_f32_e32 v42, v58, v44
	v_mov_b32_e32 v41, v37
	v_add_f32_e32 v43, v63, v46
	v_fmac_f32_e32 v62, v47, v22
	v_fmac_f32_e32 v41, 0xbf5db3d7, v42
	;; [unrolled: 1-line block ×3, first 2 shown]
	v_add_f32_e32 v42, v38, v63
	v_fma_f32 v38, -0.5, v43, v38
	v_add_f32_e32 v34, v34, v44
	v_sub_f32_e32 v43, v45, v62
	v_mov_b32_e32 v44, v38
	v_fmac_f32_e32 v44, 0x3f5db3d7, v43
	v_fmac_f32_e32 v38, 0xbf5db3d7, v43
	v_add_f32_e32 v43, v39, v45
	v_add_f32_e32 v45, v45, v62
	v_fmac_f32_e32 v39, -0.5, v45
	v_mul_f32_e32 v69, v48, v27
	v_add_f32_e32 v42, v42, v46
	v_sub_f32_e32 v46, v63, v46
	v_mov_b32_e32 v45, v39
	v_add_f32_e32 v47, v95, v96
	v_fmac_f32_e32 v69, v49, v26
	v_fmac_f32_e32 v45, 0xbf5db3d7, v46
	;; [unrolled: 1-line block ×3, first 2 shown]
	v_add_f32_e32 v46, v32, v95
	v_fma_f32 v32, -0.5, v47, v32
	v_sub_f32_e32 v47, v60, v69
	v_mov_b32_e32 v48, v32
	v_add_f32_e32 v49, v60, v69
	v_fmac_f32_e32 v48, 0x3f5db3d7, v47
	v_fmac_f32_e32 v32, 0xbf5db3d7, v47
	v_add_f32_e32 v47, v33, v60
	v_fmac_f32_e32 v33, -0.5, v49
	v_mul_f32_e32 v101, v52, v31
	v_sub_f32_e32 v52, v95, v96
	v_mov_b32_e32 v49, v33
	v_fmac_f32_e32 v49, 0xbf5db3d7, v52
	v_fmac_f32_e32 v33, 0x3f5db3d7, v52
	v_add_f32_e32 v52, v89, v50
	v_add_f32_e32 v95, v52, v51
	;; [unrolled: 1-line block ×3, first 2 shown]
	v_fmac_f32_e32 v101, v53, v30
	v_fmac_f32_e32 v89, -0.5, v52
	v_add_f32_e32 v35, v35, v61
	v_sub_f32_e32 v52, v100, v101
	v_mov_b32_e32 v99, v89
	v_fmac_f32_e32 v99, 0x3f5db3d7, v52
	v_fmac_f32_e32 v89, 0xbf5db3d7, v52
	v_add_f32_e32 v52, v90, v100
	ds_write2_b64 v103, v[34:35], v[40:41] offset1:100
	ds_write_b64 v103, v[36:37] offset:1600
	v_mov_b32_e32 v34, 0x12c
	v_add_f32_e32 v46, v46, v96
	v_add_f32_e32 v96, v52, v101
	;; [unrolled: 1-line block ×3, first 2 shown]
	v_cndmask_b32_e32 v34, 0, v34, vcc
	v_fmac_f32_e32 v90, -0.5, v52
	v_add_u32_e32 v34, v54, v34
	v_sub_f32_e32 v50, v50, v51
	v_mov_b32_e32 v100, v90
	v_lshl_add_u32 v107, v34, 3, v109
	v_mad_legacy_u16 v34, v55, s4, v56
	v_add_f32_e32 v43, v43, v62
	v_add_f32_e32 v47, v47, v69
	v_fmac_f32_e32 v100, 0xbf5db3d7, v50
	v_fmac_f32_e32 v90, 0x3f5db3d7, v50
	v_lshl_add_u32 v108, v34, 3, v109
	v_lshl_add_u32 v69, v57, 3, v109
	ds_write2_b64 v107, v[42:43], v[44:45] offset1:100
	ds_write_b64 v107, v[38:39] offset:1600
	ds_write2_b64 v108, v[46:47], v[48:49] offset1:100
	ds_write_b64 v108, v[32:33] offset:1600
	s_and_saveexec_b64 s[4:5], s[0:1]
	s_cbranch_execz .LBB0_5
; %bb.4:
	v_add_u32_e32 v32, 0x1000, v69
	ds_write2_b64 v32, v[95:96], v[99:100] offset0:88 offset1:188
	ds_write_b64 v69, v[89:90] offset:6400
.LBB0_5:
	s_or_b64 exec, exec, s[4:5]
	v_add_u32_e32 v32, 0x400, v103
	s_waitcnt lgkmcnt(0)
	s_barrier
	ds_read2_b64 v[48:51], v32 offset0:52 offset1:172
	v_add_u32_e32 v32, 0x1000, v103
	ds_read2_b64 v[56:59], v32 offset0:88 offset1:178
	v_add_u32_e32 v32, 0x800, v103
	ds_read2_b64 v[52:55], v103 offset1:90
	ds_read2_b64 v[60:63], v32 offset0:134 offset1:224
	ds_read_b64 v[101:102], v103 offset:6240
	s_and_saveexec_b64 s[4:5], s[0:1]
	s_cbranch_execz .LBB0_7
; %bb.6:
	ds_read_b64 v[95:96], v103 offset:2160
	ds_read_b64 v[99:100], v103 offset:4560
	;; [unrolled: 1-line block ×3, first 2 shown]
.LBB0_7:
	s_or_b64 exec, exec, s[4:5]
	v_lshlrev_b64 v[32:33], 4, v[93:94]
	v_mov_b32_e32 v93, s15
	v_lshlrev_b64 v[34:35], 4, v[91:92]
	v_add_co_u32_e32 v32, vcc, s14, v32
	v_addc_co_u32_e32 v33, vcc, v93, v33, vcc
	global_load_dwordx4 v[36:39], v[97:98], off offset:2320
	global_load_dwordx4 v[44:47], v[32:33], off offset:2320
	v_add_co_u32_e32 v32, vcc, s14, v34
	v_addc_co_u32_e32 v33, vcc, v93, v35, vcc
	s_movk_i32 s4, 0xffe2
	global_load_dwordx4 v[40:43], v[32:33], off offset:2320
	v_add_co_u32_e32 v32, vcc, s4, v68
	v_addc_co_u32_e64 v33, s[4:5], 0, -1, vcc
	v_cndmask_b32_e64 v33, v33, v111, s[0:1]
	v_cndmask_b32_e64 v32, v32, v110, s[0:1]
	v_lshlrev_b64 v[32:33], 4, v[32:33]
	v_add_co_u32_e32 v32, vcc, s14, v32
	v_addc_co_u32_e32 v33, vcc, v93, v33, vcc
	global_load_dwordx4 v[32:35], v[32:33], off offset:2320
	s_waitcnt vmcnt(3) lgkmcnt(4)
	v_mul_f32_e32 v92, v50, v37
	s_waitcnt lgkmcnt(3)
	v_mul_f32_e32 v94, v56, v39
	v_mul_f32_e32 v91, v51, v37
	;; [unrolled: 1-line block ×3, first 2 shown]
	v_fmac_f32_e32 v92, v51, v36
	v_fmac_f32_e32 v94, v57, v38
	v_fma_f32 v50, v50, v36, -v91
	v_fma_f32 v51, v56, v38, -v93
	s_waitcnt lgkmcnt(2)
	v_add_f32_e32 v98, v53, v92
	v_add_f32_e32 v110, v92, v94
	;; [unrolled: 1-line block ×4, first 2 shown]
	v_sub_f32_e32 v97, v92, v94
	s_waitcnt vmcnt(2) lgkmcnt(1)
	v_mul_f32_e32 v111, v61, v45
	s_waitcnt vmcnt(1)
	v_mul_f32_e32 v115, v63, v41
	v_add_f32_e32 v92, v98, v94
	v_fma_f32 v94, -0.5, v110, v53
	v_sub_f32_e32 v50, v50, v51
	v_mul_f32_e32 v112, v60, v45
	v_mul_f32_e32 v113, v59, v47
	v_mul_f32_e32 v116, v62, v41
	v_add_f32_e32 v91, v56, v51
	v_fma_f32 v93, -0.5, v57, v52
	v_fma_f32 v51, v60, v44, -v111
	v_fma_f32 v53, v62, v40, -v115
	v_mov_b32_e32 v62, v94
	v_mul_f32_e32 v114, v58, v47
	s_waitcnt lgkmcnt(0)
	v_mul_f32_e32 v117, v102, v43
	v_mul_f32_e32 v118, v101, v43
	v_fmac_f32_e32 v112, v61, v44
	v_fma_f32 v52, v58, v46, -v113
	v_mov_b32_e32 v61, v93
	v_fmac_f32_e32 v94, 0x3f5db3d7, v50
	v_fmac_f32_e32 v62, 0xbf5db3d7, v50
	v_add_f32_e32 v50, v54, v51
	v_fmac_f32_e32 v114, v59, v46
	v_fma_f32 v56, v101, v42, -v117
	v_fmac_f32_e32 v118, v102, v42
	v_fmac_f32_e32 v93, 0xbf5db3d7, v97
	;; [unrolled: 1-line block ×3, first 2 shown]
	v_add_f32_e32 v59, v51, v52
	s_waitcnt vmcnt(0)
	v_mul_f32_e32 v102, v100, v33
	v_add_f32_e32 v97, v50, v52
	v_add_f32_e32 v50, v48, v53
	v_mul_f32_e32 v57, v99, v33
	v_fma_f32 v54, -0.5, v59, v54
	v_fma_f32 v59, v99, v32, -v102
	v_add_f32_e32 v99, v50, v56
	v_add_f32_e32 v50, v53, v56
	v_fmac_f32_e32 v116, v63, v40
	v_add_f32_e32 v101, v112, v114
	v_fma_f32 v48, -0.5, v50, v48
	v_add_f32_e32 v60, v55, v112
	v_fmac_f32_e32 v55, -0.5, v101
	v_sub_f32_e32 v50, v116, v118
	v_mov_b32_e32 v101, v48
	v_fmac_f32_e32 v101, 0x3f5db3d7, v50
	v_fmac_f32_e32 v48, 0xbf5db3d7, v50
	v_add_f32_e32 v50, v49, v116
	v_fmac_f32_e32 v57, v100, v32
	v_add_f32_e32 v100, v50, v118
	v_add_f32_e32 v50, v116, v118
	v_mul_f32_e32 v110, v90, v35
	v_fmac_f32_e32 v49, -0.5, v50
	v_add_f32_e32 v98, v60, v114
	v_fma_f32 v60, v89, v34, -v110
	v_sub_f32_e32 v50, v53, v56
	v_mov_b32_e32 v102, v49
	v_mul_f32_e32 v58, v89, v35
	v_fmac_f32_e32 v102, 0xbf5db3d7, v50
	v_fmac_f32_e32 v49, 0x3f5db3d7, v50
	v_add_f32_e32 v50, v59, v60
	v_sub_f32_e32 v51, v51, v52
	v_fmac_f32_e32 v58, v90, v34
	v_mov_b32_e32 v90, v55
	v_fma_f32 v50, -0.5, v50, v95
	v_fmac_f32_e32 v90, 0xbf5db3d7, v51
	v_fmac_f32_e32 v55, 0x3f5db3d7, v51
	v_sub_f32_e32 v51, v57, v58
	v_mov_b32_e32 v52, v50
	v_fmac_f32_e32 v52, 0x3f5db3d7, v51
	v_fmac_f32_e32 v50, 0xbf5db3d7, v51
	v_add_f32_e32 v51, v57, v58
	v_fma_f32 v51, -0.5, v51, v96
	v_sub_f32_e32 v56, v59, v60
	v_mov_b32_e32 v53, v51
	v_sub_f32_e32 v63, v112, v114
	v_mov_b32_e32 v89, v54
	v_fmac_f32_e32 v53, 0xbf5db3d7, v56
	v_fmac_f32_e32 v51, 0x3f5db3d7, v56
	v_lshl_add_u32 v56, v68, 3, v109
	v_fmac_f32_e32 v54, 0xbf5db3d7, v63
	v_fmac_f32_e32 v89, 0x3f5db3d7, v63
	ds_write_b64 v56, v[61:62] offset:2400
	ds_write_b64 v56, v[93:94] offset:4800
	ds_write2_b64 v103, v[91:92], v[97:98] offset1:90
	ds_write_b64 v56, v[89:90] offset:3120
	ds_write_b64 v56, v[54:55] offset:5520
	;; [unrolled: 1-line block ×5, first 2 shown]
	s_and_saveexec_b64 s[4:5], s[0:1]
	s_cbranch_execz .LBB0_9
; %bb.8:
	v_add_f32_e32 v48, v96, v57
	v_add_f32_e32 v49, v48, v58
	;; [unrolled: 1-line block ×4, first 2 shown]
	ds_write_b64 v103, v[48:49] offset:2160
	ds_write_b64 v56, v[52:53] offset:4560
	;; [unrolled: 1-line block ×3, first 2 shown]
.LBB0_9:
	s_or_b64 exec, exec, s[4:5]
	v_mov_b32_e32 v48, s13
	v_addc_co_u32_e64 v91, vcc, 0, v48, s[2:3]
	v_add_co_u32_e32 v48, vcc, 0x1c20, v104
	v_addc_co_u32_e32 v49, vcc, 0, v91, vcc
	v_add_co_u32_e32 v54, vcc, 0x1000, v104
	v_addc_co_u32_e32 v55, vcc, 0, v91, vcc
	s_waitcnt lgkmcnt(0)
	s_barrier
	global_load_dwordx2 v[54:55], v[54:55], off offset:3104
	ds_read2_b64 v[57:60], v103 offset1:90
	s_movk_i32 s2, 0x2000
	v_add_u32_e32 v101, 0x1400, v103
	s_waitcnt vmcnt(0) lgkmcnt(0)
	v_mul_f32_e32 v61, v58, v55
	v_mul_f32_e32 v62, v57, v55
	v_fma_f32 v61, v57, v54, -v61
	v_fmac_f32_e32 v62, v58, v54
	global_load_dwordx2 v[54:55], v[48:49], off offset:720
	s_waitcnt vmcnt(0)
	v_mul_f32_e32 v57, v60, v55
	v_mul_f32_e32 v58, v59, v55
	v_fma_f32 v57, v59, v54, -v57
	v_fmac_f32_e32 v58, v60, v54
	ds_write2_b64 v103, v[61:62], v[57:58] offset1:90
	global_load_dwordx2 v[61:62], v[48:49], off offset:1440
	v_add_u32_e32 v54, 0x400, v103
	ds_read2_b64 v[57:60], v54 offset0:52 offset1:142
	s_waitcnt vmcnt(0) lgkmcnt(0)
	v_mul_f32_e32 v55, v58, v62
	v_mul_f32_e32 v90, v57, v62
	v_fma_f32 v89, v57, v61, -v55
	v_fmac_f32_e32 v90, v58, v61
	global_load_dwordx2 v[57:58], v[48:49], off offset:2160
	s_waitcnt vmcnt(0)
	v_mul_f32_e32 v55, v60, v58
	v_mul_f32_e32 v62, v59, v58
	v_fma_f32 v61, v59, v57, -v55
	v_fmac_f32_e32 v62, v60, v57
	ds_write2_b64 v54, v[89:90], v[61:62] offset0:52 offset1:142
	global_load_dwordx2 v[61:62], v[48:49], off offset:2880
	v_add_u32_e32 v55, 0x800, v103
	global_load_dwordx2 v[48:49], v[48:49], off offset:3600
	ds_read2_b64 v[57:60], v55 offset0:104 offset1:194
	s_waitcnt vmcnt(1) lgkmcnt(0)
	v_mul_f32_e32 v63, v58, v62
	v_mul_f32_e32 v90, v57, v62
	v_fma_f32 v89, v57, v61, -v63
	v_fmac_f32_e32 v90, v58, v61
	s_waitcnt vmcnt(0)
	v_mul_f32_e32 v57, v60, v49
	v_mul_f32_e32 v58, v59, v49
	v_fma_f32 v57, v59, v48, -v57
	v_fmac_f32_e32 v58, v60, v48
	v_add_co_u32_e32 v48, vcc, s2, v104
	v_addc_co_u32_e32 v49, vcc, 0, v91, vcc
	global_load_dwordx2 v[62:63], v[48:49], off offset:3328
	ds_write2_b64 v55, v[89:90], v[57:58] offset0:104 offset1:194
	global_load_dwordx2 v[48:49], v[48:49], off offset:4048
	v_add_u32_e32 v57, 0x1000, v103
	ds_read2_b64 v[58:61], v57 offset0:28 offset1:118
	s_movk_i32 s2, 0x3000
	s_waitcnt vmcnt(1) lgkmcnt(0)
	v_mul_f32_e32 v89, v59, v63
	v_mul_f32_e32 v90, v58, v63
	v_fma_f32 v89, v58, v62, -v89
	v_fmac_f32_e32 v90, v59, v62
	s_waitcnt vmcnt(0)
	v_mul_f32_e32 v58, v61, v49
	v_mul_f32_e32 v59, v60, v49
	v_fma_f32 v58, v60, v48, -v58
	v_fmac_f32_e32 v59, v61, v48
	v_add_co_u32_e32 v48, vcc, s2, v104
	v_addc_co_u32_e32 v49, vcc, 0, v91, vcc
	global_load_dwordx2 v[62:63], v[48:49], off offset:672
	ds_write2_b64 v57, v[89:90], v[58:59] offset0:28 offset1:118
	global_load_dwordx2 v[48:49], v[48:49], off offset:1392
	ds_read2_b64 v[58:61], v101 offset0:80 offset1:170
	s_waitcnt vmcnt(1) lgkmcnt(0)
	v_mul_f32_e32 v89, v59, v63
	v_mul_f32_e32 v90, v58, v63
	v_fma_f32 v89, v58, v62, -v89
	v_fmac_f32_e32 v90, v59, v62
	s_waitcnt vmcnt(0)
	v_mul_f32_e32 v58, v61, v49
	v_mul_f32_e32 v59, v60, v49
	v_fma_f32 v58, v60, v48, -v58
	v_fmac_f32_e32 v59, v61, v48
	ds_write2_b64 v101, v[89:90], v[58:59] offset0:80 offset1:170
	s_waitcnt lgkmcnt(0)
	s_barrier
	ds_read2_b64 v[58:61], v103 offset1:90
	ds_read2_b64 v[89:92], v54 offset0:52 offset1:142
	ds_read2_b64 v[93:96], v55 offset0:104 offset1:194
	;; [unrolled: 1-line block ×4, first 2 shown]
	s_waitcnt lgkmcnt(0)
	v_add_f32_e32 v48, v58, v89
	v_sub_f32_e32 v104, v89, v93
	v_add_f32_e32 v49, v93, v97
	v_fma_f32 v49, -0.5, v49, v58
	v_sub_f32_e32 v62, v90, v110
	v_mov_b32_e32 v63, v49
	v_fmac_f32_e32 v63, 0xbf737871, v62
	v_sub_f32_e32 v102, v94, v98
	v_sub_f32_e32 v113, v109, v97
	v_fmac_f32_e32 v49, 0x3f737871, v62
	v_fmac_f32_e32 v63, 0xbf167918, v102
	v_add_f32_e32 v104, v104, v113
	v_fmac_f32_e32 v49, 0x3f167918, v102
	v_fmac_f32_e32 v63, 0x3e9e377a, v104
	;; [unrolled: 1-line block ×3, first 2 shown]
	v_add_f32_e32 v104, v89, v109
	v_fma_f32 v104, -0.5, v104, v58
	v_mov_b32_e32 v113, v104
	v_fmac_f32_e32 v113, 0x3f737871, v102
	v_sub_f32_e32 v58, v93, v89
	v_sub_f32_e32 v114, v97, v109
	v_fmac_f32_e32 v104, 0xbf737871, v102
	v_fmac_f32_e32 v113, 0xbf167918, v62
	v_add_f32_e32 v58, v58, v114
	v_fmac_f32_e32 v104, 0x3f167918, v62
	v_fmac_f32_e32 v113, 0x3e9e377a, v58
	;; [unrolled: 1-line block ×3, first 2 shown]
	v_add_f32_e32 v58, v59, v90
	v_add_f32_e32 v58, v58, v94
	;; [unrolled: 1-line block ×5, first 2 shown]
	v_fma_f32 v102, -0.5, v58, v59
	v_add_f32_e32 v48, v48, v93
	v_sub_f32_e32 v58, v89, v109
	v_mov_b32_e32 v114, v102
	v_add_f32_e32 v48, v48, v97
	v_fmac_f32_e32 v114, 0x3f737871, v58
	v_sub_f32_e32 v89, v93, v97
	v_sub_f32_e32 v93, v90, v94
	;; [unrolled: 1-line block ×3, first 2 shown]
	v_fmac_f32_e32 v102, 0xbf737871, v58
	v_fmac_f32_e32 v114, 0x3f167918, v89
	v_add_f32_e32 v93, v93, v97
	v_fmac_f32_e32 v102, 0xbf167918, v89
	v_fmac_f32_e32 v114, 0x3e9e377a, v93
	;; [unrolled: 1-line block ×3, first 2 shown]
	v_add_f32_e32 v93, v90, v110
	v_fma_f32 v115, -0.5, v93, v59
	v_mov_b32_e32 v116, v115
	v_fmac_f32_e32 v116, 0xbf737871, v89
	v_fmac_f32_e32 v115, 0x3f737871, v89
	v_fmac_f32_e32 v116, 0x3f167918, v58
	v_fmac_f32_e32 v115, 0xbf167918, v58
	v_add_f32_e32 v58, v60, v91
	v_add_f32_e32 v58, v58, v95
	;; [unrolled: 1-line block ×3, first 2 shown]
	v_sub_f32_e32 v59, v94, v90
	v_sub_f32_e32 v90, v98, v110
	v_add_f32_e32 v97, v58, v111
	v_add_f32_e32 v58, v95, v99
	;; [unrolled: 1-line block ×3, first 2 shown]
	v_fma_f32 v94, -0.5, v58, v60
	v_fmac_f32_e32 v116, 0x3e9e377a, v59
	v_fmac_f32_e32 v115, 0x3e9e377a, v59
	v_sub_f32_e32 v58, v92, v112
	v_mov_b32_e32 v59, v94
	v_fmac_f32_e32 v59, 0xbf737871, v58
	v_sub_f32_e32 v89, v96, v100
	v_sub_f32_e32 v90, v91, v95
	;; [unrolled: 1-line block ×3, first 2 shown]
	v_fmac_f32_e32 v94, 0x3f737871, v58
	v_fmac_f32_e32 v59, 0xbf167918, v89
	v_add_f32_e32 v90, v90, v93
	v_fmac_f32_e32 v94, 0x3f167918, v89
	v_fmac_f32_e32 v59, 0x3e9e377a, v90
	;; [unrolled: 1-line block ×3, first 2 shown]
	v_add_f32_e32 v90, v91, v111
	v_fma_f32 v98, -0.5, v90, v60
	v_add_f32_e32 v48, v48, v109
	v_mov_b32_e32 v109, v98
	v_fmac_f32_e32 v109, 0x3f737871, v89
	v_fmac_f32_e32 v98, 0xbf737871, v89
	;; [unrolled: 1-line block ×4, first 2 shown]
	v_add_f32_e32 v58, v61, v92
	v_add_f32_e32 v58, v58, v96
	;; [unrolled: 1-line block ×5, first 2 shown]
	v_sub_f32_e32 v60, v95, v91
	v_sub_f32_e32 v90, v99, v111
	v_fma_f32 v117, -0.5, v58, v61
	v_add_f32_e32 v60, v60, v90
	v_sub_f32_e32 v58, v91, v111
	v_mov_b32_e32 v111, v117
	v_fmac_f32_e32 v109, 0x3e9e377a, v60
	v_fmac_f32_e32 v98, 0x3e9e377a, v60
	;; [unrolled: 1-line block ×3, first 2 shown]
	v_sub_f32_e32 v60, v95, v99
	v_sub_f32_e32 v89, v92, v96
	;; [unrolled: 1-line block ×3, first 2 shown]
	v_fmac_f32_e32 v117, 0xbf737871, v58
	v_fmac_f32_e32 v111, 0x3f167918, v60
	v_add_f32_e32 v89, v89, v90
	v_fmac_f32_e32 v117, 0xbf167918, v60
	v_fmac_f32_e32 v111, 0x3e9e377a, v89
	;; [unrolled: 1-line block ×3, first 2 shown]
	v_add_f32_e32 v89, v92, v112
	v_fmac_f32_e32 v61, -0.5, v89
	v_mov_b32_e32 v95, v61
	v_fmac_f32_e32 v95, 0xbf737871, v60
	v_sub_f32_e32 v89, v96, v92
	v_sub_f32_e32 v90, v100, v112
	v_fmac_f32_e32 v61, 0x3f737871, v60
	v_fmac_f32_e32 v95, 0x3f167918, v58
	v_add_f32_e32 v89, v89, v90
	v_fmac_f32_e32 v61, 0xbf167918, v58
	v_fmac_f32_e32 v95, 0x3e9e377a, v89
	;; [unrolled: 1-line block ×3, first 2 shown]
	v_mul_f32_e32 v96, 0xbf167918, v111
	v_mul_f32_e32 v99, 0xbf737871, v95
	;; [unrolled: 1-line block ×8, first 2 shown]
	v_fmac_f32_e32 v96, 0x3f4f1bbd, v59
	v_fmac_f32_e32 v99, 0x3e9e377a, v109
	;; [unrolled: 1-line block ×8, first 2 shown]
	v_add_f32_e32 v89, v48, v97
	v_add_f32_e32 v91, v63, v96
	;; [unrolled: 1-line block ×10, first 2 shown]
	v_sub_f32_e32 v95, v48, v97
	v_sub_f32_e32 v97, v63, v96
	;; [unrolled: 1-line block ×10, first 2 shown]
	s_barrier
	ds_write_b128 v105, v[89:92]
	ds_write_b128 v105, v[58:61] offset:16
	ds_write_b128 v105, v[93:96] offset:32
	;; [unrolled: 1-line block ×4, first 2 shown]
	s_waitcnt lgkmcnt(0)
	s_barrier
	ds_read2_b64 v[58:61], v103 offset1:90
	ds_read2_b64 v[89:92], v54 offset0:52 offset1:142
	ds_read2_b64 v[93:96], v55 offset0:104 offset1:194
	ds_read2_b64 v[97:100], v57 offset0:28 offset1:118
	ds_read2_b64 v[109:112], v101 offset0:80 offset1:170
	s_waitcnt lgkmcnt(4)
	v_mul_f32_e32 v48, v13, v61
	v_mul_f32_e32 v13, v13, v60
	v_fmac_f32_e32 v48, v12, v60
	v_fma_f32 v12, v12, v61, -v13
	s_waitcnt lgkmcnt(3)
	v_mul_f32_e32 v13, v15, v90
	v_mul_f32_e32 v15, v15, v89
	v_fmac_f32_e32 v13, v14, v89
	v_fma_f32 v14, v14, v90, -v15
	v_mul_f32_e32 v15, v9, v92
	v_mul_f32_e32 v9, v9, v91
	v_fmac_f32_e32 v15, v8, v91
	v_fma_f32 v8, v8, v92, -v9
	s_waitcnt lgkmcnt(2)
	v_mul_f32_e32 v9, v11, v94
	v_mul_f32_e32 v11, v11, v93
	v_fmac_f32_e32 v9, v10, v93
	v_fma_f32 v10, v10, v94, -v11
	;; [unrolled: 9-line block ×3, first 2 shown]
	v_mul_f32_e32 v7, v1, v100
	v_mul_f32_e32 v1, v1, v99
	v_fmac_f32_e32 v7, v0, v99
	v_fma_f32 v0, v0, v100, -v1
	s_waitcnt lgkmcnt(0)
	v_mul_f32_e32 v1, v3, v110
	v_mul_f32_e32 v3, v3, v109
	v_add_f32_e32 v61, v9, v5
	v_fmac_f32_e32 v1, v2, v109
	v_fma_f32 v2, v2, v110, -v3
	v_fma_f32 v61, -0.5, v61, v58
	v_mul_f32_e32 v3, v88, v112
	v_mul_f32_e32 v49, v88, v111
	v_sub_f32_e32 v62, v14, v2
	v_mov_b32_e32 v63, v61
	v_fmac_f32_e32 v3, v87, v111
	v_fma_f32 v49, v87, v112, -v49
	v_fmac_f32_e32 v63, 0xbf737871, v62
	v_sub_f32_e32 v87, v10, v6
	v_sub_f32_e32 v88, v13, v9
	;; [unrolled: 1-line block ×3, first 2 shown]
	v_fmac_f32_e32 v61, 0x3f737871, v62
	v_fmac_f32_e32 v63, 0xbf167918, v87
	v_add_f32_e32 v88, v88, v89
	v_fmac_f32_e32 v61, 0x3f167918, v87
	v_fmac_f32_e32 v63, 0x3e9e377a, v88
	;; [unrolled: 1-line block ×3, first 2 shown]
	v_add_f32_e32 v88, v13, v1
	v_add_f32_e32 v60, v58, v13
	v_fma_f32 v58, -0.5, v88, v58
	v_mov_b32_e32 v88, v58
	v_add_f32_e32 v60, v60, v9
	v_fmac_f32_e32 v88, 0x3f737871, v87
	v_fmac_f32_e32 v58, 0xbf737871, v87
	v_add_f32_e32 v87, v10, v6
	v_add_f32_e32 v60, v60, v5
	v_sub_f32_e32 v89, v9, v13
	v_sub_f32_e32 v90, v5, v1
	v_fma_f32 v87, -0.5, v87, v59
	v_add_f32_e32 v60, v60, v1
	v_fmac_f32_e32 v88, 0xbf167918, v62
	v_add_f32_e32 v89, v89, v90
	v_fmac_f32_e32 v58, 0x3f167918, v62
	v_sub_f32_e32 v1, v13, v1
	v_mov_b32_e32 v13, v87
	v_fmac_f32_e32 v88, 0x3e9e377a, v89
	v_fmac_f32_e32 v58, 0x3e9e377a, v89
	;; [unrolled: 1-line block ×3, first 2 shown]
	v_sub_f32_e32 v5, v9, v5
	v_sub_f32_e32 v9, v14, v10
	;; [unrolled: 1-line block ×3, first 2 shown]
	v_fmac_f32_e32 v87, 0xbf737871, v1
	v_fmac_f32_e32 v13, 0x3f167918, v5
	v_add_f32_e32 v9, v9, v89
	v_fmac_f32_e32 v87, 0xbf167918, v5
	v_fmac_f32_e32 v13, 0x3e9e377a, v9
	;; [unrolled: 1-line block ×3, first 2 shown]
	v_add_f32_e32 v9, v14, v2
	v_add_f32_e32 v62, v59, v14
	v_fma_f32 v59, -0.5, v9, v59
	v_mov_b32_e32 v89, v59
	v_fmac_f32_e32 v89, 0xbf737871, v5
	v_fmac_f32_e32 v59, 0x3f737871, v5
	;; [unrolled: 1-line block ×4, first 2 shown]
	v_add_f32_e32 v1, v48, v15
	v_add_f32_e32 v62, v62, v10
	;; [unrolled: 1-line block ×6, first 2 shown]
	v_sub_f32_e32 v9, v10, v14
	v_sub_f32_e32 v2, v6, v2
	v_add_f32_e32 v10, v1, v3
	v_add_f32_e32 v1, v11, v7
	;; [unrolled: 1-line block ×3, first 2 shown]
	v_fma_f32 v9, -0.5, v1, v48
	v_sub_f32_e32 v1, v8, v49
	v_mov_b32_e32 v5, v9
	v_fmac_f32_e32 v89, 0x3e9e377a, v2
	v_fmac_f32_e32 v59, 0x3e9e377a, v2
	;; [unrolled: 1-line block ×3, first 2 shown]
	v_sub_f32_e32 v2, v4, v0
	v_sub_f32_e32 v6, v15, v11
	;; [unrolled: 1-line block ×3, first 2 shown]
	v_fmac_f32_e32 v9, 0x3f737871, v1
	v_fmac_f32_e32 v5, 0xbf167918, v2
	v_add_f32_e32 v6, v6, v14
	v_fmac_f32_e32 v9, 0x3f167918, v2
	v_fmac_f32_e32 v5, 0x3e9e377a, v6
	;; [unrolled: 1-line block ×3, first 2 shown]
	v_add_f32_e32 v6, v15, v3
	v_fmac_f32_e32 v48, -0.5, v6
	v_mov_b32_e32 v14, v48
	v_fmac_f32_e32 v14, 0x3f737871, v2
	v_fmac_f32_e32 v48, 0xbf737871, v2
	;; [unrolled: 1-line block ×4, first 2 shown]
	v_add_f32_e32 v1, v12, v8
	v_add_f32_e32 v1, v1, v4
	v_sub_f32_e32 v6, v11, v15
	v_sub_f32_e32 v90, v7, v3
	v_add_f32_e32 v1, v1, v0
	v_add_f32_e32 v6, v6, v90
	;; [unrolled: 1-line block ×4, first 2 shown]
	v_fma_f32 v91, -0.5, v1, v12
	v_sub_f32_e32 v1, v15, v3
	v_mov_b32_e32 v3, v91
	v_fmac_f32_e32 v14, 0x3e9e377a, v6
	v_fmac_f32_e32 v48, 0x3e9e377a, v6
	;; [unrolled: 1-line block ×3, first 2 shown]
	v_sub_f32_e32 v2, v11, v7
	v_sub_f32_e32 v6, v8, v4
	;; [unrolled: 1-line block ×3, first 2 shown]
	v_fmac_f32_e32 v91, 0xbf737871, v1
	v_fmac_f32_e32 v3, 0x3f167918, v2
	v_add_f32_e32 v6, v6, v7
	v_fmac_f32_e32 v91, 0xbf167918, v2
	v_fmac_f32_e32 v3, 0x3e9e377a, v6
	;; [unrolled: 1-line block ×3, first 2 shown]
	v_add_f32_e32 v6, v8, v49
	v_fmac_f32_e32 v12, -0.5, v6
	v_mov_b32_e32 v7, v12
	v_fmac_f32_e32 v7, 0xbf737871, v2
	v_sub_f32_e32 v4, v4, v8
	v_sub_f32_e32 v0, v0, v49
	v_fmac_f32_e32 v12, 0x3f737871, v2
	v_fmac_f32_e32 v7, 0x3f167918, v1
	v_add_f32_e32 v0, v4, v0
	v_fmac_f32_e32 v12, 0xbf167918, v1
	v_fmac_f32_e32 v7, 0x3e9e377a, v0
	;; [unrolled: 1-line block ×3, first 2 shown]
	v_mul_f32_e32 v11, 0xbf167918, v3
	v_mul_f32_e32 v15, 0xbf737871, v7
	;; [unrolled: 1-line block ×8, first 2 shown]
	v_fmac_f32_e32 v11, 0x3f4f1bbd, v5
	v_fmac_f32_e32 v15, 0x3e9e377a, v14
	;; [unrolled: 1-line block ×8, first 2 shown]
	v_add_f32_e32 v0, v60, v10
	v_add_f32_e32 v2, v63, v11
	;; [unrolled: 1-line block ×10, first 2 shown]
	v_sub_f32_e32 v10, v60, v10
	v_sub_f32_e32 v12, v63, v11
	v_sub_f32_e32 v14, v88, v15
	v_sub_f32_e32 v11, v62, v90
	v_sub_f32_e32 v13, v13, v93
	v_sub_f32_e32 v15, v89, v94
	v_sub_f32_e32 v58, v58, v49
	v_sub_f32_e32 v48, v61, v92
	v_sub_f32_e32 v59, v59, v95
	v_sub_f32_e32 v49, v87, v91
	s_barrier
	ds_write2_b64 v106, v[0:1], v[2:3] offset1:10
	ds_write2_b64 v106, v[4:5], v[6:7] offset0:20 offset1:30
	ds_write2_b64 v106, v[8:9], v[10:11] offset0:40 offset1:50
	;; [unrolled: 1-line block ×4, first 2 shown]
	s_waitcnt lgkmcnt(0)
	s_barrier
	ds_read2_b64 v[4:7], v103 offset1:90
	ds_read2_b64 v[0:3], v54 offset0:52 offset1:172
	ds_read2_b64 v[12:15], v57 offset0:88 offset1:178
	;; [unrolled: 1-line block ×3, first 2 shown]
	ds_read_b64 v[54:55], v103 offset:6240
	s_and_saveexec_b64 s[2:3], s[0:1]
	s_cbranch_execz .LBB0_11
; %bb.10:
	ds_read_b64 v[48:49], v103 offset:2160
	ds_read_b64 v[52:53], v103 offset:4560
	ds_read_b64 v[50:51], v103 offset:6960
.LBB0_11:
	s_or_b64 exec, exec, s[2:3]
	s_waitcnt lgkmcnt(3)
	v_mul_f32_e32 v57, v17, v3
	v_fmac_f32_e32 v57, v16, v2
	v_mul_f32_e32 v2, v17, v2
	v_fma_f32 v16, v16, v3, -v2
	s_waitcnt lgkmcnt(2)
	v_mul_f32_e32 v17, v19, v13
	v_mul_f32_e32 v2, v19, v12
	v_fmac_f32_e32 v17, v18, v12
	v_fma_f32 v12, v18, v13, -v2
	s_waitcnt lgkmcnt(1)
	v_mul_f32_e32 v2, v21, v8
	v_fma_f32 v18, v20, v9, -v2
	v_mul_f32_e32 v19, v23, v15
	v_mul_f32_e32 v2, v23, v14
	v_fmac_f32_e32 v19, v22, v14
	v_fma_f32 v14, v22, v15, -v2
	v_mul_f32_e32 v2, v25, v10
	v_mul_f32_e32 v13, v21, v9
	;; [unrolled: 1-line block ×3, first 2 shown]
	v_fma_f32 v22, v24, v11, -v2
	s_waitcnt lgkmcnt(0)
	v_mul_f32_e32 v2, v27, v54
	v_fmac_f32_e32 v21, v24, v10
	v_mul_f32_e32 v23, v27, v55
	v_fma_f32 v24, v26, v55, -v2
	v_mul_f32_e32 v2, v29, v52
	v_fmac_f32_e32 v23, v26, v54
	v_mul_f32_e32 v25, v29, v53
	v_fma_f32 v26, v28, v53, -v2
	v_mul_f32_e32 v2, v31, v50
	v_add_f32_e32 v3, v57, v17
	v_fmac_f32_e32 v25, v28, v52
	v_fma_f32 v28, v30, v51, -v2
	v_add_f32_e32 v2, v4, v57
	v_fma_f32 v4, -0.5, v3, v4
	v_fmac_f32_e32 v13, v20, v8
	v_sub_f32_e32 v3, v16, v12
	v_mov_b32_e32 v8, v4
	v_add_f32_e32 v9, v16, v12
	v_fmac_f32_e32 v8, 0xbf5db3d7, v3
	v_fmac_f32_e32 v4, 0x3f5db3d7, v3
	v_add_f32_e32 v3, v5, v16
	v_fma_f32 v5, -0.5, v9, v5
	v_sub_f32_e32 v10, v57, v17
	v_mov_b32_e32 v9, v5
	v_add_f32_e32 v11, v13, v19
	v_fmac_f32_e32 v9, 0x3f5db3d7, v10
	v_fmac_f32_e32 v5, 0xbf5db3d7, v10
	v_add_f32_e32 v10, v6, v13
	v_fma_f32 v6, -0.5, v11, v6
	v_add_f32_e32 v3, v3, v12
	v_sub_f32_e32 v11, v18, v14
	v_mov_b32_e32 v12, v6
	v_fmac_f32_e32 v12, 0xbf5db3d7, v11
	v_fmac_f32_e32 v6, 0x3f5db3d7, v11
	v_add_f32_e32 v11, v7, v18
	v_add_f32_e32 v11, v11, v14
	;; [unrolled: 1-line block ×3, first 2 shown]
	v_fmac_f32_e32 v7, -0.5, v14
	v_sub_f32_e32 v14, v13, v19
	v_mov_b32_e32 v13, v7
	v_add_f32_e32 v15, v21, v23
	v_fmac_f32_e32 v13, 0x3f5db3d7, v14
	v_fmac_f32_e32 v7, 0xbf5db3d7, v14
	v_add_f32_e32 v14, v0, v21
	v_fma_f32 v0, -0.5, v15, v0
	v_mul_f32_e32 v27, v31, v51
	v_sub_f32_e32 v15, v22, v24
	v_mov_b32_e32 v20, v0
	v_add_f32_e32 v16, v22, v24
	v_fmac_f32_e32 v27, v30, v50
	v_fmac_f32_e32 v20, 0xbf5db3d7, v15
	;; [unrolled: 1-line block ×3, first 2 shown]
	v_add_f32_e32 v15, v1, v22
	v_fmac_f32_e32 v1, -0.5, v16
	v_add_f32_e32 v2, v2, v17
	v_sub_f32_e32 v16, v21, v23
	v_mov_b32_e32 v21, v1
	v_add_f32_e32 v17, v25, v27
	v_fmac_f32_e32 v21, 0x3f5db3d7, v16
	v_fmac_f32_e32 v1, 0xbf5db3d7, v16
	v_add_f32_e32 v16, v48, v25
	v_fmac_f32_e32 v48, -0.5, v17
	v_add_f32_e32 v10, v10, v19
	v_sub_f32_e32 v17, v26, v28
	v_mov_b32_e32 v18, v48
	v_add_f32_e32 v19, v26, v28
	v_fmac_f32_e32 v18, 0xbf5db3d7, v17
	v_fmac_f32_e32 v48, 0x3f5db3d7, v17
	v_add_f32_e32 v17, v49, v26
	v_fmac_f32_e32 v49, -0.5, v19
	v_sub_f32_e32 v22, v25, v27
	v_mov_b32_e32 v19, v49
	v_add_f32_e32 v16, v16, v27
	v_add_f32_e32 v17, v17, v28
	v_fmac_f32_e32 v19, 0x3f5db3d7, v22
	v_fmac_f32_e32 v49, 0xbf5db3d7, v22
	v_add_f32_e32 v14, v14, v23
	v_add_f32_e32 v15, v15, v24
	s_barrier
	ds_write2_b64 v103, v[2:3], v[8:9] offset1:100
	ds_write_b64 v103, v[4:5] offset:1600
	ds_write2_b64 v107, v[10:11], v[12:13] offset1:100
	ds_write_b64 v107, v[6:7] offset:1600
	ds_write2_b64 v108, v[14:15], v[20:21] offset1:100
	ds_write_b64 v108, v[0:1] offset:1600
	s_and_saveexec_b64 s[2:3], s[0:1]
	s_cbranch_execz .LBB0_13
; %bb.12:
	v_add_u32_e32 v0, 0x1000, v69
	ds_write2_b64 v0, v[16:17], v[18:19] offset0:88 offset1:188
	ds_write_b64 v69, v[48:49] offset:6400
.LBB0_13:
	s_or_b64 exec, exec, s[2:3]
	v_add_u32_e32 v8, 0x1000, v103
	s_waitcnt lgkmcnt(0)
	s_barrier
	v_add_u32_e32 v0, 0x400, v103
	ds_read2_b64 v[12:15], v8 offset0:88 offset1:178
	v_add_u32_e32 v8, 0x800, v103
	ds_read2_b64 v[4:7], v103 offset1:90
	ds_read2_b64 v[0:3], v0 offset0:52 offset1:172
	ds_read2_b64 v[8:11], v8 offset0:134 offset1:224
	ds_read_b64 v[20:21], v103 offset:6240
	v_add_u32_e32 v22, 0x5a0, v103
	s_and_saveexec_b64 s[2:3], s[0:1]
	s_cbranch_execz .LBB0_15
; %bb.14:
	ds_read_b64 v[16:17], v103 offset:2160
	ds_read_b64 v[18:19], v103 offset:4560
	;; [unrolled: 1-line block ×3, first 2 shown]
.LBB0_15:
	s_or_b64 exec, exec, s[2:3]
	s_waitcnt lgkmcnt(2)
	v_mul_f32_e32 v23, v37, v3
	v_fmac_f32_e32 v23, v36, v2
	v_mul_f32_e32 v2, v37, v2
	v_fma_f32 v24, v36, v3, -v2
	v_mul_f32_e32 v25, v39, v13
	v_mul_f32_e32 v2, v39, v12
	v_fmac_f32_e32 v25, v38, v12
	v_fma_f32 v12, v38, v13, -v2
	s_waitcnt lgkmcnt(1)
	v_mul_f32_e32 v2, v45, v8
	v_fma_f32 v26, v44, v9, -v2
	v_mul_f32_e32 v27, v47, v15
	v_mul_f32_e32 v2, v47, v14
	v_fmac_f32_e32 v27, v46, v14
	v_fma_f32 v14, v46, v15, -v2
	v_mul_f32_e32 v2, v41, v10
	v_fma_f32 v29, v40, v11, -v2
	s_waitcnt lgkmcnt(0)
	v_mul_f32_e32 v2, v43, v20
	v_add_f32_e32 v3, v23, v25
	v_mul_f32_e32 v13, v45, v9
	v_mul_f32_e32 v30, v43, v21
	v_fma_f32 v21, v42, v21, -v2
	v_add_f32_e32 v2, v4, v23
	v_fma_f32 v4, -0.5, v3, v4
	v_fmac_f32_e32 v13, v44, v8
	v_sub_f32_e32 v3, v24, v12
	v_mov_b32_e32 v8, v4
	v_add_f32_e32 v9, v24, v12
	v_mul_f32_e32 v28, v41, v11
	v_fmac_f32_e32 v8, 0xbf5db3d7, v3
	v_fmac_f32_e32 v4, 0x3f5db3d7, v3
	v_add_f32_e32 v3, v5, v24
	v_fma_f32 v5, -0.5, v9, v5
	v_fmac_f32_e32 v28, v40, v10
	v_sub_f32_e32 v10, v23, v25
	v_mov_b32_e32 v9, v5
	v_add_f32_e32 v11, v13, v27
	v_fmac_f32_e32 v9, 0x3f5db3d7, v10
	v_fmac_f32_e32 v5, 0xbf5db3d7, v10
	v_add_f32_e32 v10, v6, v13
	v_fma_f32 v6, -0.5, v11, v6
	v_add_f32_e32 v3, v3, v12
	v_sub_f32_e32 v11, v26, v14
	v_mov_b32_e32 v12, v6
	v_fmac_f32_e32 v12, 0xbf5db3d7, v11
	v_fmac_f32_e32 v6, 0x3f5db3d7, v11
	v_add_f32_e32 v11, v7, v26
	v_add_f32_e32 v11, v11, v14
	;; [unrolled: 1-line block ×3, first 2 shown]
	v_fmac_f32_e32 v30, v42, v20
	v_fmac_f32_e32 v7, -0.5, v14
	v_sub_f32_e32 v14, v13, v27
	v_mov_b32_e32 v13, v7
	v_add_f32_e32 v15, v28, v30
	v_fmac_f32_e32 v13, 0x3f5db3d7, v14
	v_fmac_f32_e32 v7, 0xbf5db3d7, v14
	v_add_f32_e32 v14, v0, v28
	v_fma_f32 v0, -0.5, v15, v0
	v_sub_f32_e32 v15, v29, v21
	v_mov_b32_e32 v20, v0
	v_fmac_f32_e32 v20, 0xbf5db3d7, v15
	v_fmac_f32_e32 v0, 0x3f5db3d7, v15
	v_add_f32_e32 v15, v1, v29
	v_add_f32_e32 v15, v15, v21
	;; [unrolled: 1-line block ×3, first 2 shown]
	v_fmac_f32_e32 v1, -0.5, v21
	v_add_f32_e32 v2, v2, v25
	v_sub_f32_e32 v23, v28, v30
	v_mov_b32_e32 v21, v1
	v_add_f32_e32 v10, v10, v27
	v_add_f32_e32 v14, v14, v30
	v_fmac_f32_e32 v21, 0x3f5db3d7, v23
	v_fmac_f32_e32 v1, 0xbf5db3d7, v23
	ds_write_b64 v103, v[2:3]
	ds_write_b64 v56, v[8:9] offset:2400
	ds_write_b64 v56, v[4:5] offset:4800
	ds_write_b64 v103, v[10:11] offset:720
	ds_write_b64 v56, v[12:13] offset:3120
	ds_write_b64 v56, v[6:7] offset:5520
	ds_write_b64 v103, v[14:15] offset:1440
	ds_write_b64 v22, v[20:21] offset:2400
	ds_write_b64 v22, v[0:1] offset:4800
	s_and_saveexec_b64 s[2:3], s[0:1]
	s_cbranch_execz .LBB0_17
; %bb.16:
	v_mul_f32_e32 v0, v33, v18
	v_fma_f32 v2, v32, v19, -v0
	v_mul_f32_e32 v0, v35, v48
	v_fma_f32 v4, v34, v49, -v0
	v_add_f32_e32 v0, v2, v4
	v_mul_f32_e32 v6, v33, v19
	v_mul_f32_e32 v7, v35, v49
	v_fma_f32 v1, -0.5, v0, v17
	v_fmac_f32_e32 v6, v32, v18
	v_fmac_f32_e32 v7, v34, v48
	v_sub_f32_e32 v0, v6, v7
	v_mov_b32_e32 v3, v1
	v_fmac_f32_e32 v3, 0xbf5db3d7, v0
	v_fmac_f32_e32 v1, 0x3f5db3d7, v0
	v_add_f32_e32 v0, v17, v2
	v_add_f32_e32 v5, v0, v4
	;; [unrolled: 1-line block ×3, first 2 shown]
	v_fma_f32 v0, -0.5, v0, v16
	v_sub_f32_e32 v4, v2, v4
	v_mov_b32_e32 v2, v0
	v_fmac_f32_e32 v2, 0x3f5db3d7, v4
	v_fmac_f32_e32 v0, 0xbf5db3d7, v4
	v_add_f32_e32 v4, v16, v6
	v_add_f32_e32 v4, v4, v7
	ds_write_b64 v103, v[4:5] offset:2160
	ds_write_b64 v56, v[0:1] offset:4560
	;; [unrolled: 1-line block ×3, first 2 shown]
.LBB0_17:
	s_or_b64 exec, exec, s[2:3]
	s_waitcnt lgkmcnt(0)
	s_barrier
	ds_read2_b64 v[0:3], v103 offset1:90
	v_mad_u64_u32 v[4:5], s[0:1], s10, v70, 0
	s_mov_b32 s0, 0x789abcdf
	s_mov_b32 s1, 0x3f523456
	s_waitcnt lgkmcnt(0)
	v_mul_f32_e32 v6, v86, v1
	v_fmac_f32_e32 v6, v85, v0
	v_cvt_f64_f32_e32 v[6:7], v6
	v_mul_f32_e32 v0, v86, v0
	v_fma_f32 v0, v85, v1, -v0
	v_cvt_f64_f32_e32 v[0:1], v0
	v_mul_f64 v[6:7], v[6:7], s[0:1]
	v_mad_u64_u32 v[8:9], s[2:3], s8, v68, 0
	v_mul_f64 v[0:1], v[0:1], s[0:1]
	v_mad_u64_u32 v[10:11], s[2:3], s11, v70, v[5:6]
	v_mov_b32_e32 v5, v9
	v_mad_u64_u32 v[11:12], s[2:3], s9, v68, v[5:6]
	v_mov_b32_e32 v5, v10
	v_cvt_f32_f64_e32 v6, v[6:7]
	v_cvt_f32_f64_e32 v7, v[0:1]
	v_lshlrev_b64 v[0:1], 3, v[4:5]
	v_mul_f32_e32 v4, v84, v3
	v_fmac_f32_e32 v4, v83, v2
	v_mul_f32_e32 v2, v84, v2
	v_fma_f32 v2, v83, v3, -v2
	v_mov_b32_e32 v9, v11
	v_mov_b32_e32 v10, s17
	v_cvt_f64_f32_e32 v[2:3], v2
	v_add_co_u32_e32 v11, vcc, s16, v0
	v_addc_co_u32_e32 v12, vcc, v10, v1, vcc
	v_lshlrev_b64 v[0:1], 3, v[8:9]
	v_cvt_f64_f32_e32 v[4:5], v4
	v_add_co_u32_e32 v10, vcc, v11, v0
	v_add_u32_e32 v0, 0x400, v103
	v_mul_f64 v[8:9], v[2:3], s[0:1]
	v_addc_co_u32_e32 v11, vcc, v12, v1, vcc
	ds_read2_b64 v[0:3], v0 offset0:52 offset1:142
	v_mul_f64 v[4:5], v[4:5], s[0:1]
	global_store_dwordx2 v[10:11], v[6:7], off
	s_mul_i32 s2, s9, 0x2d0
	s_mul_hi_u32 s3, s8, 0x2d0
	s_waitcnt lgkmcnt(0)
	v_mul_f32_e32 v6, v82, v1
	v_fmac_f32_e32 v6, v81, v0
	v_mul_f32_e32 v0, v82, v0
	v_fma_f32 v0, v81, v1, -v0
	v_cvt_f64_f32_e32 v[6:7], v6
	v_cvt_f64_f32_e32 v[0:1], v0
	v_cvt_f32_f64_e32 v4, v[4:5]
	v_cvt_f32_f64_e32 v5, v[8:9]
	s_add_i32 s2, s3, s2
	s_mul_i32 s3, s8, 0x2d0
	v_mov_b32_e32 v9, s2
	v_mul_f64 v[6:7], v[6:7], s[0:1]
	v_add_co_u32_e32 v8, vcc, s3, v10
	v_mul_f64 v[0:1], v[0:1], s[0:1]
	v_addc_co_u32_e32 v9, vcc, v11, v9, vcc
	global_store_dwordx2 v[8:9], v[4:5], off
	v_mul_f32_e32 v5, v78, v3
	v_fmac_f32_e32 v5, v77, v2
	v_mul_f32_e32 v2, v78, v2
	v_fma_f32 v2, v77, v3, -v2
	v_cvt_f64_f32_e32 v[2:3], v2
	v_cvt_f32_f64_e32 v4, v[6:7]
	v_cvt_f64_f32_e32 v[6:7], v5
	v_cvt_f32_f64_e32 v5, v[0:1]
	v_add_u32_e32 v0, 0x800, v103
	v_mul_f64 v[10:11], v[2:3], s[0:1]
	ds_read2_b64 v[0:3], v0 offset0:104 offset1:194
	v_mov_b32_e32 v12, s2
	v_add_co_u32_e32 v8, vcc, s3, v8
	v_addc_co_u32_e32 v9, vcc, v9, v12, vcc
	global_store_dwordx2 v[8:9], v[4:5], off
	s_waitcnt lgkmcnt(0)
	v_mul_f32_e32 v4, v80, v1
	v_fmac_f32_e32 v4, v79, v0
	v_cvt_f64_f32_e32 v[4:5], v4
	v_mul_f32_e32 v0, v80, v0
	v_fma_f32 v0, v79, v1, -v0
	v_mul_f64 v[6:7], v[6:7], s[0:1]
	v_mul_f64 v[4:5], v[4:5], s[0:1]
	v_cvt_f64_f32_e32 v[0:1], v0
	v_add_co_u32_e32 v8, vcc, s3, v8
	v_mul_f64 v[0:1], v[0:1], s[0:1]
	v_cvt_f32_f64_e32 v6, v[6:7]
	v_cvt_f32_f64_e32 v4, v[4:5]
	v_mul_f32_e32 v5, v74, v3
	v_fmac_f32_e32 v5, v73, v2
	v_mul_f32_e32 v2, v74, v2
	v_cvt_f32_f64_e32 v7, v[10:11]
	v_fma_f32 v2, v73, v3, -v2
	v_cvt_f64_f32_e32 v[2:3], v2
	v_mov_b32_e32 v10, s2
	v_addc_co_u32_e32 v9, vcc, v9, v10, vcc
	global_store_dwordx2 v[8:9], v[6:7], off
	v_cvt_f64_f32_e32 v[6:7], v5
	v_cvt_f32_f64_e32 v5, v[0:1]
	v_add_u32_e32 v0, 0x1000, v103
	v_mul_f64 v[10:11], v[2:3], s[0:1]
	ds_read2_b64 v[0:3], v0 offset0:28 offset1:118
	v_add_co_u32_e32 v8, vcc, s3, v8
	v_addc_co_u32_e32 v9, vcc, v9, v12, vcc
	global_store_dwordx2 v[8:9], v[4:5], off
	s_waitcnt lgkmcnt(0)
	v_mul_f32_e32 v4, v76, v1
	v_fmac_f32_e32 v4, v75, v0
	v_cvt_f64_f32_e32 v[4:5], v4
	v_mul_f64 v[6:7], v[6:7], s[0:1]
	v_mul_f32_e32 v0, v76, v0
	v_fma_f32 v0, v75, v1, -v0
	v_mul_f64 v[4:5], v[4:5], s[0:1]
	v_cvt_f64_f32_e32 v[0:1], v0
	v_add_co_u32_e32 v8, vcc, s3, v8
	v_cvt_f32_f64_e32 v6, v[6:7]
	v_cvt_f32_f64_e32 v7, v[10:11]
	v_mul_f64 v[0:1], v[0:1], s[0:1]
	v_mov_b32_e32 v10, s2
	v_cvt_f32_f64_e32 v4, v[4:5]
	v_mul_f32_e32 v5, v72, v3
	v_addc_co_u32_e32 v9, vcc, v9, v10, vcc
	v_fmac_f32_e32 v5, v71, v2
	global_store_dwordx2 v[8:9], v[6:7], off
	v_cvt_f64_f32_e32 v[6:7], v5
	v_mul_f32_e32 v2, v72, v2
	v_fma_f32 v2, v71, v3, -v2
	v_cvt_f64_f32_e32 v[2:3], v2
	v_mul_f64 v[6:7], v[6:7], s[0:1]
	v_cvt_f32_f64_e32 v5, v[0:1]
	v_mov_b32_e32 v0, s2
	v_add_co_u32_e32 v8, vcc, s3, v8
	v_addc_co_u32_e32 v9, vcc, v9, v0, vcc
	v_add_u32_e32 v0, 0x1400, v103
	v_mul_f64 v[10:11], v[2:3], s[0:1]
	ds_read2_b64 v[0:3], v0 offset0:80 offset1:170
	global_store_dwordx2 v[8:9], v[4:5], off
	v_cvt_f32_f64_e32 v4, v[6:7]
	v_add_co_u32_e32 v8, vcc, s3, v8
	s_waitcnt lgkmcnt(0)
	v_mul_f32_e32 v6, v67, v1
	v_fmac_f32_e32 v6, v66, v0
	v_mul_f32_e32 v0, v67, v0
	v_fma_f32 v0, v66, v1, -v0
	v_cvt_f32_f64_e32 v5, v[10:11]
	v_cvt_f64_f32_e32 v[6:7], v6
	v_cvt_f64_f32_e32 v[0:1], v0
	v_mov_b32_e32 v10, s2
	v_addc_co_u32_e32 v9, vcc, v9, v10, vcc
	global_store_dwordx2 v[8:9], v[4:5], off
	v_mul_f64 v[4:5], v[6:7], s[0:1]
	v_mul_f64 v[0:1], v[0:1], s[0:1]
	v_mul_f32_e32 v6, v65, v3
	v_fmac_f32_e32 v6, v64, v2
	v_mul_f32_e32 v2, v65, v2
	v_fma_f32 v2, v64, v3, -v2
	v_cvt_f64_f32_e32 v[6:7], v6
	v_cvt_f64_f32_e32 v[2:3], v2
	v_cvt_f32_f64_e32 v4, v[4:5]
	v_cvt_f32_f64_e32 v5, v[0:1]
	v_mul_f64 v[0:1], v[6:7], s[0:1]
	v_mul_f64 v[2:3], v[2:3], s[0:1]
	v_mov_b32_e32 v7, s2
	v_add_co_u32_e32 v6, vcc, s3, v8
	v_addc_co_u32_e32 v7, vcc, v9, v7, vcc
	global_store_dwordx2 v[6:7], v[4:5], off
	v_cvt_f32_f64_e32 v0, v[0:1]
	v_cvt_f32_f64_e32 v1, v[2:3]
	v_mov_b32_e32 v3, s2
	v_add_co_u32_e32 v2, vcc, s3, v6
	v_addc_co_u32_e32 v3, vcc, v7, v3, vcc
	global_store_dwordx2 v[2:3], v[0:1], off
.LBB0_18:
	s_endpgm
	.section	.rodata,"a",@progbits
	.p2align	6, 0x0
	.amdhsa_kernel bluestein_single_fwd_len900_dim1_sp_op_CI_CI
		.amdhsa_group_segment_fixed_size 14400
		.amdhsa_private_segment_fixed_size 0
		.amdhsa_kernarg_size 104
		.amdhsa_user_sgpr_count 6
		.amdhsa_user_sgpr_private_segment_buffer 1
		.amdhsa_user_sgpr_dispatch_ptr 0
		.amdhsa_user_sgpr_queue_ptr 0
		.amdhsa_user_sgpr_kernarg_segment_ptr 1
		.amdhsa_user_sgpr_dispatch_id 0
		.amdhsa_user_sgpr_flat_scratch_init 0
		.amdhsa_user_sgpr_private_segment_size 0
		.amdhsa_uses_dynamic_stack 0
		.amdhsa_system_sgpr_private_segment_wavefront_offset 0
		.amdhsa_system_sgpr_workgroup_id_x 1
		.amdhsa_system_sgpr_workgroup_id_y 0
		.amdhsa_system_sgpr_workgroup_id_z 0
		.amdhsa_system_sgpr_workgroup_info 0
		.amdhsa_system_vgpr_workitem_id 0
		.amdhsa_next_free_vgpr 121
		.amdhsa_next_free_sgpr 20
		.amdhsa_reserve_vcc 1
		.amdhsa_reserve_flat_scratch 0
		.amdhsa_float_round_mode_32 0
		.amdhsa_float_round_mode_16_64 0
		.amdhsa_float_denorm_mode_32 3
		.amdhsa_float_denorm_mode_16_64 3
		.amdhsa_dx10_clamp 1
		.amdhsa_ieee_mode 1
		.amdhsa_fp16_overflow 0
		.amdhsa_exception_fp_ieee_invalid_op 0
		.amdhsa_exception_fp_denorm_src 0
		.amdhsa_exception_fp_ieee_div_zero 0
		.amdhsa_exception_fp_ieee_overflow 0
		.amdhsa_exception_fp_ieee_underflow 0
		.amdhsa_exception_fp_ieee_inexact 0
		.amdhsa_exception_int_div_zero 0
	.end_amdhsa_kernel
	.text
.Lfunc_end0:
	.size	bluestein_single_fwd_len900_dim1_sp_op_CI_CI, .Lfunc_end0-bluestein_single_fwd_len900_dim1_sp_op_CI_CI
                                        ; -- End function
	.section	.AMDGPU.csdata,"",@progbits
; Kernel info:
; codeLenInByte = 10128
; NumSgprs: 24
; NumVgprs: 121
; ScratchSize: 0
; MemoryBound: 0
; FloatMode: 240
; IeeeMode: 1
; LDSByteSize: 14400 bytes/workgroup (compile time only)
; SGPRBlocks: 2
; VGPRBlocks: 30
; NumSGPRsForWavesPerEU: 24
; NumVGPRsForWavesPerEU: 121
; Occupancy: 2
; WaveLimiterHint : 1
; COMPUTE_PGM_RSRC2:SCRATCH_EN: 0
; COMPUTE_PGM_RSRC2:USER_SGPR: 6
; COMPUTE_PGM_RSRC2:TRAP_HANDLER: 0
; COMPUTE_PGM_RSRC2:TGID_X_EN: 1
; COMPUTE_PGM_RSRC2:TGID_Y_EN: 0
; COMPUTE_PGM_RSRC2:TGID_Z_EN: 0
; COMPUTE_PGM_RSRC2:TIDIG_COMP_CNT: 0
	.type	__hip_cuid_6db0096995ad6daf,@object ; @__hip_cuid_6db0096995ad6daf
	.section	.bss,"aw",@nobits
	.globl	__hip_cuid_6db0096995ad6daf
__hip_cuid_6db0096995ad6daf:
	.byte	0                               ; 0x0
	.size	__hip_cuid_6db0096995ad6daf, 1

	.ident	"AMD clang version 19.0.0git (https://github.com/RadeonOpenCompute/llvm-project roc-6.4.0 25133 c7fe45cf4b819c5991fe208aaa96edf142730f1d)"
	.section	".note.GNU-stack","",@progbits
	.addrsig
	.addrsig_sym __hip_cuid_6db0096995ad6daf
	.amdgpu_metadata
---
amdhsa.kernels:
  - .args:
      - .actual_access:  read_only
        .address_space:  global
        .offset:         0
        .size:           8
        .value_kind:     global_buffer
      - .actual_access:  read_only
        .address_space:  global
        .offset:         8
        .size:           8
        .value_kind:     global_buffer
      - .actual_access:  read_only
        .address_space:  global
        .offset:         16
        .size:           8
        .value_kind:     global_buffer
      - .actual_access:  read_only
        .address_space:  global
        .offset:         24
        .size:           8
        .value_kind:     global_buffer
      - .actual_access:  read_only
        .address_space:  global
        .offset:         32
        .size:           8
        .value_kind:     global_buffer
      - .offset:         40
        .size:           8
        .value_kind:     by_value
      - .address_space:  global
        .offset:         48
        .size:           8
        .value_kind:     global_buffer
      - .address_space:  global
        .offset:         56
        .size:           8
        .value_kind:     global_buffer
      - .address_space:  global
        .offset:         64
        .size:           8
        .value_kind:     global_buffer
      - .address_space:  global
        .offset:         72
        .size:           8
        .value_kind:     global_buffer
      - .offset:         80
        .size:           4
        .value_kind:     by_value
      - .address_space:  global
        .offset:         88
        .size:           8
        .value_kind:     global_buffer
      - .address_space:  global
        .offset:         96
        .size:           8
        .value_kind:     global_buffer
    .group_segment_fixed_size: 14400
    .kernarg_segment_align: 8
    .kernarg_segment_size: 104
    .language:       OpenCL C
    .language_version:
      - 2
      - 0
    .max_flat_workgroup_size: 180
    .name:           bluestein_single_fwd_len900_dim1_sp_op_CI_CI
    .private_segment_fixed_size: 0
    .sgpr_count:     24
    .sgpr_spill_count: 0
    .symbol:         bluestein_single_fwd_len900_dim1_sp_op_CI_CI.kd
    .uniform_work_group_size: 1
    .uses_dynamic_stack: false
    .vgpr_count:     121
    .vgpr_spill_count: 0
    .wavefront_size: 64
amdhsa.target:   amdgcn-amd-amdhsa--gfx906
amdhsa.version:
  - 1
  - 2
...

	.end_amdgpu_metadata
